;; amdgpu-corpus repo=ROCm/aiter kind=harvested arch=n/a opt=n/a

/root/src/amdgpu-assembly/repos/ROCm__aiter/hsa/gfx950/fmoe_2stages/fmoe_stage1_bf16_pertokenFp8_doweight_g1u1_112x128_pf2.co:	file format elf64-amdgpu

Disassembly of section .text:

0000000000002a00 <_ZN5aiter54fmoe_stage1_bf16_pertokenFp8_doweight_g1u1_112x128_pf2E>:
	s_and_b32 s1, s1, 0xffff                                   // 000000002A00: 8601FF01 0000FFFF
	s_load_dwordx2 s[8:9], s[0:1], 0x0                         // 000000002A08: C0060200 00000000
	s_load_dwordx2 s[20:21], s[0:1], 0x10                      // 000000002A10: C0060500 00000010
	s_load_dwordx2 s[24:25], s[0:1], 0x20                      // 000000002A18: C0060600 00000020
	s_load_dwordx2 s[48:49], s[0:1], 0x30                      // 000000002A20: C0060C00 00000030
	s_load_dwordx2 s[28:29], s[0:1], 0x40                      // 000000002A28: C0060700 00000040
	s_load_dwordx2 s[32:33], s[0:1], 0x50                      // 000000002A30: C0060800 00000050
	s_load_dwordx2 s[36:37], s[0:1], 0x60                      // 000000002A38: C0060900 00000060
	s_load_dwordx2 s[12:13], s[0:1], 0x70                      // 000000002A40: C0060300 00000070
	s_load_dwordx2 s[44:45], s[0:1], 0x80                      // 000000002A48: C0060B00 00000080
	s_mov_b32 s89, 0                                           // 000000002A50: BED90080
	s_load_dword s64, s[0:1], 0x90                             // 000000002A54: C0021000 00000090
	s_load_dword s65, s[0:1], 0xa0                             // 000000002A5C: C0021040 000000A0
	s_load_dword s66, s[0:1], 0xb0                             // 000000002A64: C0021080 000000B0
	s_load_dword s67, s[0:1], 0xc0                             // 000000002A6C: C00210C0 000000C0
	s_load_dword s68, s[0:1], 0xd0                             // 000000002A74: C0021100 000000D0
	s_load_dword s69, s[0:1], 0xe0                             // 000000002A7C: C0021140 000000E0
	s_load_dword s71, s[0:1], 0xf0                             // 000000002A84: C00211C0 000000F0
	s_load_dword s72, s[0:1], 0x100                            // 000000002A8C: C0021200 00000100
	s_load_dword s74, s[0:1], 0x110                            // 000000002A94: C0021280 00000110
	s_load_dword s76, s[0:1], 0x120                            // 000000002A9C: C0021300 00000120
	s_load_dword s56, s[0:1], 0x130                            // 000000002AA4: C0020E00 00000130
	s_load_dword s88, s[0:1], 0x140                            // 000000002AAC: C0021600 00000140
	s_load_dword s89, s[0:1], 0x150                            // 000000002AB4: C0021640 00000150
	s_load_dwordx2 s[40:41], s[0:1], 0x160                     // 000000002ABC: C0060A00 00000160
	v_lshrrev_b32_e32 v1, 10, v0                               // 000000002AC4: 2002008A
	v_lshrrev_b32_e32 v2, 10, v1                               // 000000002AC8: 2004028A
	v_and_b32_e32 v2, 0x3ff, v2                                // 000000002ACC: 260404FF 000003FF
	v_and_b32_e32 v1, 0x3ff, v1                                // 000000002AD4: 260202FF 000003FF
	v_and_b32_e32 v0, 0x3ff, v0                                // 000000002ADC: 260000FF 000003FF
	v_lshrrev_b32_e32 v3, 6, v0                                // 000000002AE4: 20060086
	v_and_b32_e32 v0, 63, v0                                   // 000000002AE8: 260000BF
	s_mov_b32 s2, s2                                           // 000000002AEC: BE820002
	s_mov_b32 s3, s3                                           // 000000002AF0: BE830003
	s_mov_b32 s4, s4                                           // 000000002AF4: BE840004
	v_readfirstlane_b32 s7, v3                                 // 000000002AF8: 7E0E0503
	s_waitcnt lgkmcnt(0)                                       // 000000002AFC: BF8CC07F
	s_and_b32 s49, s49, 0xffff                                 // 000000002B00: 8631FF31 0000FFFF
	s_load_dword s48, s[48:49], 0x0                            // 000000002B08: C0020C18 00000000
	s_and_b32 s45, s45, 0xffff                                 // 000000002B10: 862DFF2D 0000FFFF
	s_and_b32 s9, s9, 0xffff                                   // 000000002B18: 8609FF09 0000FFFF
	s_mul_i32 s60, s66, s68                                    // 000000002B20: 923C4442
	s_mul_i32 s61, s66, 4                                      // 000000002B24: 923D8442
	s_mov_b32 s22, s60                                         // 000000002B28: BE96003C
	s_mov_b32 s26, -16                                         // 000000002B2C: BE9A00D0
	s_mov_b32 s30, s61                                         // 000000002B30: BE9E003D
	s_mov_b32 s14, 0x1c0                                       // 000000002B34: BE8E00FF 000001C0
	s_mov_b32 s38, -16                                         // 000000002B3C: BEA600D0
	s_mov_b32 s10, -16                                         // 000000002B40: BE8A00D0
	s_mov_b32 s34, 0x200                                       // 000000002B44: BEA200FF 00000200
	s_mov_b32 s23, 0x20000                                     // 000000002B4C: BE9700FF 00020000
	s_mov_b32 s27, 0x20000                                     // 000000002B54: BE9B00FF 00020000
	s_mov_b32 s31, 0x20000                                     // 000000002B5C: BE9F00FF 00020000
	s_mov_b32 s35, 0x20000                                     // 000000002B64: BEA300FF 00020000
	s_mov_b32 s15, 0x20000                                     // 000000002B6C: BE8F00FF 00020000
	s_mov_b32 s39, 0x20000                                     // 000000002B74: BEA700FF 00020000
	s_mov_b32 s11, 0x20000                                     // 000000002B7C: BE8B00FF 00020000
	s_and_b32 s21, s21, 0xffff                                 // 000000002B84: 8615FF15 0000FFFF
	s_and_b32 s25, s25, 0xffff                                 // 000000002B8C: 8619FF19 0000FFFF
	s_and_b32 s29, s29, 0xffff                                 // 000000002B94: 861DFF1D 0000FFFF
	s_and_b32 s33, s33, 0xffff                                 // 000000002B9C: 8621FF21 0000FFFF
	s_and_b32 s13, s13, 0xffff                                 // 000000002BA4: 860DFF0D 0000FFFF
	s_and_b32 s37, s37, 0xffff                                 // 000000002BAC: 8625FF25 0000FFFF
	s_or_b32 s21, s21, 0x40000                                 // 000000002BB4: 8715FF15 00040000
	s_or_b32 s25, s25, 0x40000                                 // 000000002BBC: 8719FF19 00040000
	s_or_b32 s29, s29, 0x40000                                 // 000000002BC4: 871DFF1D 00040000
	s_or_b32 s33, s33, 0x40000                                 // 000000002BCC: 8721FF21 00040000
	s_or_b32 s13, s13, 0x40000                                 // 000000002BD4: 870DFF0D 00040000
	s_or_b32 s37, s37, 0x40000                                 // 000000002BDC: 8725FF25 00040000
	s_mov_b32 s42, -16                                         // 000000002BE4: BEAA00D0
	s_mov_b32 s43, 0x20000                                     // 000000002BE8: BEAB00FF 00020000
	s_and_b32 s41, s41, 0xffff                                 // 000000002BF0: 8629FF29 0000FFFF
	s_or_b32 s41, s41, 0x40000                                 // 000000002BF8: 8729FF29 00040000
	v_accvgpr_write_b32 a143, 0                                // 000000002C00: D3D9408F 18000080
	v_mov_b32_e32 v190, 0                                      // 000000002C08: 7F7C0280
	s_waitcnt lgkmcnt(0)                                       // 000000002C0C: BF8CC07F
	s_mul_i32 s60, s3, 0x70                                    // 000000002C10: 923CFF03 00000070
	s_cmp_lt_i32 s60, s48                                      // 000000002C18: BF04303C
	s_cbranch_scc0 label_2A32                                  // 000000002C1C: BF8429A7
	s_mov_b32 s80, 0                                           // 000000002C20: BED00080
	s_lshr_b32 s81, s64, s88                                   // 000000002C24: 8F515840
	s_mul_i32 s60, s3, 4                                       // 000000002C28: 923C8403
	s_add_u32 s44, s60, s44                                    // 000000002C2C: 802C2C3C
	s_addc_u32 s45, 0, s45                                     // 000000002C30: 822D2D80
	s_load_dword s5, s[44:45], 0x0                             // 000000002C34: C0020156 00000000
	s_mul_i32 s60, s3, 0x70                                    // 000000002C3C: 923CFF03 00000070
	s_mul_i32 s60, 4, s60                                      // 000000002C44: 923C3C84
	s_add_u32 s12, s60, s12                                    // 000000002C48: 800C0C3C
	s_addc_u32 s13, 0, s13                                     // 000000002C4C: 820D0D80
	v_and_b32_e32 v4, 15, v0                                   // 000000002C50: 2608008F
	v_lshlrev_b32_e32 v4, 2, v4                                // 000000002C54: 24080882
	buffer_load_dword v28, v4, s[12:15], 0 offen               // 000000002C58: E0501000 80031C04
	v_add_u32_e32 v4, 64, v4                                   // 000000002C60: 680808C0
	buffer_load_dword v29, v4, s[12:15], 0 offen               // 000000002C64: E0501000 80031D04
	v_add_u32_e32 v4, 64, v4                                   // 000000002C6C: 680808C0
	buffer_load_dword v30, v4, s[12:15], 0 offen               // 000000002C70: E0501000 80031E04
	v_add_u32_e32 v4, 64, v4                                   // 000000002C78: 680808C0
	buffer_load_dword v31, v4, s[12:15], 0 offen               // 000000002C7C: E0501000 80031F04
	v_add_u32_e32 v4, 64, v4                                   // 000000002C84: 680808C0
	buffer_load_dword v32, v4, s[12:15], 0 offen               // 000000002C88: E0501000 80032004
	v_add_u32_e32 v4, 64, v4                                   // 000000002C90: 680808C0
	buffer_load_dword v33, v4, s[12:15], 0 offen               // 000000002C94: E0501000 80032104
	v_add_u32_e32 v4, 64, v4                                   // 000000002C9C: 680808C0
	buffer_load_dword v34, v4, s[12:15], 0 offen               // 000000002CA0: E0501000 80032204
	v_add_u32_e32 v4, 64, v4                                   // 000000002CA8: 680808C0
	s_mul_i32 s60, 4, s7                                       // 000000002CAC: 923C0784
	v_lshlrev_b32_e32 v4, 4, v0                                // 000000002CB0: 24080084
	v_add_u32_e32 v4, s60, v4                                  // 000000002CB4: 6808083C
	buffer_load_dword v3, v4, s[12:15], 0 offen                // 000000002CB8: E0501000 80030304
	v_mov_b32_e32 v72, 0                                       // 000000002CC0: 7E900280
	v_mov_b32_e32 v128, 0                                      // 000000002CC4: 7F000280
	v_mov_b32_e32 v73, 0                                       // 000000002CC8: 7E920280
	v_mov_b32_e32 v129, 0                                      // 000000002CCC: 7F020280
	v_mov_b32_e32 v74, 0                                       // 000000002CD0: 7E940280
	v_mov_b32_e32 v130, 0                                      // 000000002CD4: 7F040280
	v_mov_b32_e32 v75, 0                                       // 000000002CD8: 7E960280
	v_mov_b32_e32 v131, 0                                      // 000000002CDC: 7F060280
	v_mov_b32_e32 v76, 0                                       // 000000002CE0: 7E980280
	v_mov_b32_e32 v132, 0                                      // 000000002CE4: 7F080280
	v_mov_b32_e32 v77, 0                                       // 000000002CE8: 7E9A0280
	v_mov_b32_e32 v133, 0                                      // 000000002CEC: 7F0A0280
	v_mov_b32_e32 v78, 0                                       // 000000002CF0: 7E9C0280
	v_mov_b32_e32 v134, 0                                      // 000000002CF4: 7F0C0280
	v_mov_b32_e32 v79, 0                                       // 000000002CF8: 7E9E0280
	v_mov_b32_e32 v135, 0                                      // 000000002CFC: 7F0E0280
	v_mov_b32_e32 v80, 0                                       // 000000002D00: 7EA00280
	v_mov_b32_e32 v136, 0                                      // 000000002D04: 7F100280
	v_mov_b32_e32 v81, 0                                       // 000000002D08: 7EA20280
	v_mov_b32_e32 v137, 0                                      // 000000002D0C: 7F120280
	v_mov_b32_e32 v82, 0                                       // 000000002D10: 7EA40280
	v_mov_b32_e32 v138, 0                                      // 000000002D14: 7F140280
	v_mov_b32_e32 v83, 0                                       // 000000002D18: 7EA60280
	v_mov_b32_e32 v139, 0                                      // 000000002D1C: 7F160280
	v_mov_b32_e32 v84, 0                                       // 000000002D20: 7EA80280
	v_mov_b32_e32 v140, 0                                      // 000000002D24: 7F180280
	v_mov_b32_e32 v85, 0                                       // 000000002D28: 7EAA0280
	v_mov_b32_e32 v141, 0                                      // 000000002D2C: 7F1A0280
	v_mov_b32_e32 v86, 0                                       // 000000002D30: 7EAC0280
	v_mov_b32_e32 v142, 0                                      // 000000002D34: 7F1C0280
	v_mov_b32_e32 v87, 0                                       // 000000002D38: 7EAE0280
	v_mov_b32_e32 v143, 0                                      // 000000002D3C: 7F1E0280
	v_mov_b32_e32 v88, 0                                       // 000000002D40: 7EB00280
	v_mov_b32_e32 v144, 0                                      // 000000002D44: 7F200280
	v_mov_b32_e32 v89, 0                                       // 000000002D48: 7EB20280
	v_mov_b32_e32 v145, 0                                      // 000000002D4C: 7F220280
	v_mov_b32_e32 v90, 0                                       // 000000002D50: 7EB40280
	v_mov_b32_e32 v146, 0                                      // 000000002D54: 7F240280
	v_mov_b32_e32 v91, 0                                       // 000000002D58: 7EB60280
	v_mov_b32_e32 v147, 0                                      // 000000002D5C: 7F260280
	v_mov_b32_e32 v92, 0                                       // 000000002D60: 7EB80280
	v_mov_b32_e32 v148, 0                                      // 000000002D64: 7F280280
	v_mov_b32_e32 v93, 0                                       // 000000002D68: 7EBA0280
	v_mov_b32_e32 v149, 0                                      // 000000002D6C: 7F2A0280
	v_mov_b32_e32 v94, 0                                       // 000000002D70: 7EBC0280
	v_mov_b32_e32 v150, 0                                      // 000000002D74: 7F2C0280
	v_mov_b32_e32 v95, 0                                       // 000000002D78: 7EBE0280
	v_mov_b32_e32 v151, 0                                      // 000000002D7C: 7F2E0280
	v_mov_b32_e32 v96, 0                                       // 000000002D80: 7EC00280
	v_mov_b32_e32 v152, 0                                      // 000000002D84: 7F300280
	v_mov_b32_e32 v97, 0                                       // 000000002D88: 7EC20280
	v_mov_b32_e32 v153, 0                                      // 000000002D8C: 7F320280
	v_mov_b32_e32 v98, 0                                       // 000000002D90: 7EC40280
	v_mov_b32_e32 v154, 0                                      // 000000002D94: 7F340280
	v_mov_b32_e32 v99, 0                                       // 000000002D98: 7EC60280
	v_mov_b32_e32 v155, 0                                      // 000000002D9C: 7F360280
	v_mov_b32_e32 v100, 0                                      // 000000002DA0: 7EC80280
	v_mov_b32_e32 v156, 0                                      // 000000002DA4: 7F380280
	v_mov_b32_e32 v101, 0                                      // 000000002DA8: 7ECA0280
	v_mov_b32_e32 v157, 0                                      // 000000002DAC: 7F3A0280
	v_mov_b32_e32 v102, 0                                      // 000000002DB0: 7ECC0280
	v_mov_b32_e32 v158, 0                                      // 000000002DB4: 7F3C0280
	v_mov_b32_e32 v103, 0                                      // 000000002DB8: 7ECE0280
	v_mov_b32_e32 v159, 0                                      // 000000002DBC: 7F3E0280
	v_mov_b32_e32 v104, 0                                      // 000000002DC0: 7ED00280
	v_mov_b32_e32 v160, 0                                      // 000000002DC4: 7F400280
	v_mov_b32_e32 v105, 0                                      // 000000002DC8: 7ED20280
	v_mov_b32_e32 v161, 0                                      // 000000002DCC: 7F420280
	v_mov_b32_e32 v106, 0                                      // 000000002DD0: 7ED40280
	v_mov_b32_e32 v162, 0                                      // 000000002DD4: 7F440280
	v_mov_b32_e32 v107, 0                                      // 000000002DD8: 7ED60280
	v_mov_b32_e32 v163, 0                                      // 000000002DDC: 7F460280
	v_mov_b32_e32 v108, 0                                      // 000000002DE0: 7ED80280
	v_mov_b32_e32 v164, 0                                      // 000000002DE4: 7F480280
	v_mov_b32_e32 v109, 0                                      // 000000002DE8: 7EDA0280
	v_mov_b32_e32 v165, 0                                      // 000000002DEC: 7F4A0280
	v_mov_b32_e32 v110, 0                                      // 000000002DF0: 7EDC0280
	v_mov_b32_e32 v166, 0                                      // 000000002DF4: 7F4C0280
	v_mov_b32_e32 v111, 0                                      // 000000002DF8: 7EDE0280
	v_mov_b32_e32 v167, 0                                      // 000000002DFC: 7F4E0280
	v_mov_b32_e32 v112, 0                                      // 000000002E00: 7EE00280
	v_mov_b32_e32 v168, 0                                      // 000000002E04: 7F500280
	v_mov_b32_e32 v113, 0                                      // 000000002E08: 7EE20280
	v_mov_b32_e32 v169, 0                                      // 000000002E0C: 7F520280
	v_mov_b32_e32 v114, 0                                      // 000000002E10: 7EE40280
	v_mov_b32_e32 v170, 0                                      // 000000002E14: 7F540280
	v_mov_b32_e32 v115, 0                                      // 000000002E18: 7EE60280
	v_mov_b32_e32 v171, 0                                      // 000000002E1C: 7F560280
	v_mov_b32_e32 v116, 0                                      // 000000002E20: 7EE80280
	v_mov_b32_e32 v172, 0                                      // 000000002E24: 7F580280
	v_mov_b32_e32 v117, 0                                      // 000000002E28: 7EEA0280
	v_mov_b32_e32 v173, 0                                      // 000000002E2C: 7F5A0280
	v_mov_b32_e32 v118, 0                                      // 000000002E30: 7EEC0280
	v_mov_b32_e32 v174, 0                                      // 000000002E34: 7F5C0280
	v_mov_b32_e32 v119, 0                                      // 000000002E38: 7EEE0280
	v_mov_b32_e32 v175, 0                                      // 000000002E3C: 7F5E0280
	v_mov_b32_e32 v120, 0                                      // 000000002E40: 7EF00280
	v_mov_b32_e32 v176, 0                                      // 000000002E44: 7F600280
	v_mov_b32_e32 v121, 0                                      // 000000002E48: 7EF20280
	v_mov_b32_e32 v177, 0                                      // 000000002E4C: 7F620280
	v_mov_b32_e32 v122, 0                                      // 000000002E50: 7EF40280
	v_mov_b32_e32 v178, 0                                      // 000000002E54: 7F640280
	v_mov_b32_e32 v123, 0                                      // 000000002E58: 7EF60280
	v_mov_b32_e32 v179, 0                                      // 000000002E5C: 7F660280
	v_mov_b32_e32 v124, 0                                      // 000000002E60: 7EF80280
	v_mov_b32_e32 v180, 0                                      // 000000002E64: 7F680280
	v_mov_b32_e32 v125, 0                                      // 000000002E68: 7EFA0280
	v_mov_b32_e32 v181, 0                                      // 000000002E6C: 7F6A0280
	v_mov_b32_e32 v126, 0                                      // 000000002E70: 7EFC0280
	v_mov_b32_e32 v182, 0                                      // 000000002E74: 7F6C0280
	v_mov_b32_e32 v127, 0                                      // 000000002E78: 7EFE0280
	v_mov_b32_e32 v183, 0                                      // 000000002E7C: 7F6E0280
	s_mul_i32 s60, s2, 0x100                                   // 000000002E80: 923CFF02 00000100
	s_cmp_eq_u32 s88, 0                                        // 000000002E88: BF068058
	s_cselect_b32 s61, 1, 2                                    // 000000002E8C: 853D8281
	s_mul_i32 s60, s60, s61                                    // 000000002E90: 923C3D3C
	s_mov_b32 s90, s8                                          // 000000002E94: BEDA0008
	s_mov_b32 s91, s9                                          // 000000002E98: BEDB0009
	s_add_u32 s8, s60, s8                                      // 000000002E9C: 8008083C
	s_addc_u32 s9, 0, s9                                       // 000000002EA0: 82090980
	v_lshrrev_b32_e32 v4, 4, v0                                // 000000002EA4: 20080084
	v_mul_lo_u32 v20, 34, v4                                   // 000000002EA8: D2850014 000208A2
	v_and_b32_e32 v4, 15, v0                                   // 000000002EB0: 2608008F
	v_mul_lo_u32 v5, 2, v4                                     // 000000002EB4: D2850005 00020882
	v_add_u32_e32 v20, v5, v20                                 // 000000002EBC: 68282905
	s_mul_i32 s60, s7, 0x88                                    // 000000002EC0: 923CFF07 00000088
	v_add_u32_e32 v20, s60, v20                                // 000000002EC8: 6828283C
	v_lshlrev_b32_e32 v20, 2, v20                              // 000000002ECC: 24282882
	v_and_b32_e32 v4, 31, v0                                   // 000000002ED0: 2608009F
	v_lshrrev_b32_e32 v4, 1, v4                                // 000000002ED4: 20080881
	v_mul_lo_u32 v21, 34, v4                                   // 000000002ED8: D2850015 000208A2
	v_lshrrev_b32_e32 v4, 5, v0                                // 000000002EE0: 20080085
	v_mul_lo_u32 v4, 8, v4                                     // 000000002EE4: D2850004 00020888
	v_add_u32_e32 v21, v21, v4                                 // 000000002EEC: 682A0915
	v_and_b32_e32 v5, 1, v0                                    // 000000002EF0: 260A0081
	v_add_u32_e32 v21, v5, v21                                 // 000000002EF4: 682A2B05
	s_mul_i32 s60, s7, 2                                       // 000000002EF8: 923C8207
	v_add_u32_e32 v21, s60, v21                                // 000000002EFC: 682A2A3C
	v_lshlrev_b32_e32 v21, 2, v21                              // 000000002F00: 242A2A82
	s_mul_i32 s60, s7, 0xe20                                   // 000000002F04: 923CFF07 00000E20
	s_add_u32 s48, 0, s60                                      // 000000002F0C: 80303C80
	s_add_u32 s49, 0x3880, s48                                 // 000000002F10: 803130FF 00003880
	v_lshrrev_b32_e32 v4, 4, v0                                // 000000002F18: 20080084
	v_lshlrev_b32_e32 v5, 2, v4                                // 000000002F1C: 240A0882
	v_and_b32_e32 v4, 15, v0                                   // 000000002F20: 2608008F
	v_lshrrev_b32_e32 v6, 2, v4                                // 000000002F24: 200C0882
	v_lshlrev_b32_e32 v6, 5, v6                                // 000000002F28: 240C0C85
	v_add_u32_e32 v5, v6, v5                                   // 000000002F2C: 680A0B06
	v_and_b32_e32 v4, 3, v0                                    // 000000002F30: 26080083
	v_mul_u32_u24_e32 v6, 0x388, v4                            // 000000002F34: 100C08FF 00000388
	v_add_u32_e32 v5, v6, v5                                   // 000000002F3C: 680A0B06
	v_lshlrev_b32_e32 v2, 2, v5                                // 000000002F40: 24040A82
	s_waitcnt lgkmcnt(0)                                       // 000000002F44: BF8CC07F
	s_mul_i32 s60, s2, 0x80                                    // 000000002F48: 923CFF02 00000080
	s_mul_i32 s60, s60, s69                                    // 000000002F50: 923C453C
	s_mul_i32 s61, s5, s72                                     // 000000002F54: 923D4805
	s_add_u32 s60, s61, s60                                    // 000000002F58: 803C3C3D
	s_add_u32 s24, s60, s24                                    // 000000002F5C: 8018183C
	s_addc_u32 s25, 0, s25                                     // 000000002F60: 82191980
	s_lshr_b32 s60, s64, s88                                   // 000000002F64: 8F3C5840
	s_mul_i32 s60, s4, s60                                     // 000000002F68: 923C3C04
	s_lshr_b32 s60, s60, 7                                     // 000000002F6C: 8F3C873C
	s_mul_i32 s60, s60, 0x800                                  // 000000002F70: 923CFF3C 00000800
	s_add_u32 s24, s60, s24                                    // 000000002F78: 8018183C
	s_addc_u32 s25, 0, s25                                     // 000000002F7C: 82191980
	s_lshr_b32 s60, s69, s88                                   // 000000002F80: 8F3C5845
	s_mul_i32 s60, s4, s60                                     // 000000002F84: 923C3C04
	s_add_u32 s20, s60, s20                                    // 000000002F88: 8014143C
	s_addc_u32 s21, 0, s21                                     // 000000002F8C: 82151580
	s_mul_i32 s60, s7, 16                                      // 000000002F90: 923C9007
	s_mul_i32 s60, s60, s69                                    // 000000002F94: 923C453C
	v_lshlrev_b32_e32 v70, 4, v0                               // 000000002F98: 248C0084
	v_add_u32_e32 v70, s60, v70                                // 000000002F9C: 688C8C3C
	s_mul_i32 s60, 64, s69                                     // 000000002FA0: 923C45C0
	v_add_u32_e32 v71, s60, v70                                // 000000002FA4: 688E8C3C
	s_mov_b32 s84, s24                                         // 000000002FA8: BED40018
	s_mov_b32 s85, s25                                         // 000000002FAC: BED50019
	s_mov_b32 s86, s26                                         // 000000002FB0: BED6001A
	s_mov_b32 s87, s27                                         // 000000002FB4: BED7001B
	s_mul_i32 s60, s69, s65                                    // 000000002FB8: 923C4145
	s_add_u32 s84, s60, s84                                    // 000000002FBC: 8054543C
	s_addc_u32 s85, 0, s85                                     // 000000002FC0: 82555580
	v_lshrrev_b32_e32 v4, 4, v0                                // 000000002FC4: 20080084
	v_lshlrev_b32_e32 v5, 2, v4                                // 000000002FC8: 240A0882
	v_and_b32_e32 v4, 15, v0                                   // 000000002FCC: 2608008F
	v_lshrrev_b32_e32 v6, 2, v4                                // 000000002FD0: 200C0882
	v_lshlrev_b32_e32 v6, 6, v6                                // 000000002FD4: 240C0C86
	v_add_u32_e32 v5, v6, v5                                   // 000000002FD8: 680A0B06
	v_and_b32_e32 v4, 3, v0                                    // 000000002FDC: 26080083
	v_add_u32_e32 v5, v4, v5                                   // 000000002FE0: 680A0B04
	v_lshlrev_b32_e32 v22, 2, v5                               // 000000002FE4: 242C0A82
	s_mul_i32 s60, s7, 16                                      // 000000002FE8: 923C9007
	s_mul_i32 s60, s60, 4                                      // 000000002FEC: 923C843C
	v_add_u32_e32 v22, s60, v22                                // 000000002FF0: 682C2C3C
	s_mul_i32 s60, s2, 0x80                                    // 000000002FF4: 923CFF02 00000080
	s_mul_i32 s60, s60, 4                                      // 000000002FFC: 923C843C
	s_mul_i32 s61, s5, s74                                     // 000000003000: 923D4A05
	s_add_u32 s61, s61, s60                                    // 000000003004: 803D3C3D
	s_add_u32 s32, s61, s32                                    // 000000003008: 8020203D
	s_addc_u32 s33, 0, s33                                     // 00000000300C: 82212180
	s_mov_b32 s57, 0x80                                        // 000000003010: BEB900FF 00000080
	s_mov_b32 s58, 0x800                                       // 000000003018: BEBA00FF 00000800
	s_mov_b32 s83, s58                                         // 000000003020: BED3003A
	s_mov_b32 s52, 0x7060302                                   // 000000003024: BEB400FF 07060302
	s_mov_b32 s53, 0x400                                       // 00000000302C: BEB500FF 00000400
	s_mov_b32 s54, 0x40100                                     // 000000003034: BEB600FF 00040100
	s_mov_b32 s55, 0x4020100                                   // 00000000303C: BEB700FF 04020100
	s_mov_b32 s6, 0x3fb8aa3b                                   // 000000003044: BE8600FF 3FB8AA3B
	s_mov_b32 s78, 0xbd92220c                                  // 00000000304C: BECE00FF BD92220C
	s_mov_b32 s79, 0xbd92220c                                  // 000000003054: BECF00FF BD92220C
	s_mov_b32 m0, s48                                          // 00000000305C: BEFC0030
	v_mov_b32_e32 v1, 0xbfcc4231                               // 000000003060: 7E0202FF BFCC4231
	v_mov_b32_e32 v17, 0xffff0000                              // 000000003068: 7E2202FF FFFF0000
	v_mov_b32_e32 v18, 0x7fff0000                              // 000000003070: 7E2402FF 7FFF0000
	v_mov_b32_e32 v19, 0x7fff                                  // 000000003078: 7E2602FF 00007FFF
	s_waitcnt vmcnt(0) expcnt(0) lgkmcnt(0)                    // 000000003080: BF8C0000
	s_mul_i32 s60, s3, 0x70                                    // 000000003084: 923CFF03 00000070
	s_mul_i32 s60, 4, s60                                      // 00000000308C: 923C3C84
	s_add_u32 s40, s60, s40                                    // 000000003090: 8028283C
	s_addc_u32 s41, 0, s41                                     // 000000003094: 82292980
	v_and_b32_e32 v4, 15, v0                                   // 000000003098: 2608008F
	v_lshlrev_b32_e32 v4, 2, v4                                // 00000000309C: 24080882
	buffer_load_dword v184, v4, s[40:43], 0 offen              // 0000000030A0: E0501000 800AB804
	buffer_load_dword v185, v4, s[40:43], 0 offen offset:64    // 0000000030A8: E0501040 800AB904
	buffer_load_dword v186, v4, s[40:43], 0 offen offset:128   // 0000000030B0: E0501080 800ABA04
	buffer_load_dword v187, v4, s[40:43], 0 offen offset:192   // 0000000030B8: E05010C0 800ABB04
	buffer_load_dword v188, v4, s[40:43], 0 offen offset:256   // 0000000030C0: E0501100 800ABC04
	buffer_load_dword v189, v4, s[40:43], 0 offen offset:320   // 0000000030C8: E0501140 800ABD04
	buffer_load_dword v190, v4, s[40:43], 0 offen offset:384   // 0000000030D0: E0501180 800ABE04
	v_lshrrev_b32_e32 v4, 5, v0                                // 0000000030D8: 20080085
	v_xor_b32_e32 v5, 1, v4                                    // 0000000030DC: 2A0A0881
	v_readlane_b32 s82, v3, 0                                  // 0000000030E0: D2890052 00010103
	s_and_b32 s82, s82, 0xffffff                               // 0000000030E8: 8652FF52 00FFFFFF
	v_mul_lo_u32 v6, v5, s82                                   // 0000000030F0: D2850006 0000A505
	v_readlane_b32 s82, v3, 1                                  // 0000000030F8: D2890052 00010303
	s_and_b32 s82, s82, 0xffffff                               // 000000003100: 8652FF52 00FFFFFF
	v_mul_lo_u32 v7, v4, s82                                   // 000000003108: D2850007 0000A504
	v_add_u32_e32 v56, v6, v7                                  // 000000003110: 68700F06
	v_mul_lo_u32 v56, v56, s68                                 // 000000003114: D2850038 00008938
	v_readlane_b32 s82, v3, 2                                  // 00000000311C: D2890052 00010503
	s_and_b32 s82, s82, 0xffffff                               // 000000003124: 8652FF52 00FFFFFF
	v_mul_lo_u32 v6, v5, s82                                   // 00000000312C: D2850006 0000A505
	v_readlane_b32 s82, v3, 3                                  // 000000003134: D2890052 00010703
	s_and_b32 s82, s82, 0xffffff                               // 00000000313C: 8652FF52 00FFFFFF
	v_mul_lo_u32 v7, v4, s82                                   // 000000003144: D2850007 0000A504
	v_add_u32_e32 v57, v6, v7                                  // 00000000314C: 68720F06
	v_mul_lo_u32 v57, v57, s68                                 // 000000003150: D2850039 00008939
	v_readlane_b32 s82, v3, 4                                  // 000000003158: D2890052 00010903
	s_and_b32 s82, s82, 0xffffff                               // 000000003160: 8652FF52 00FFFFFF
	v_mul_lo_u32 v6, v5, s82                                   // 000000003168: D2850006 0000A505
	v_readlane_b32 s82, v3, 5                                  // 000000003170: D2890052 00010B03
	s_and_b32 s82, s82, 0xffffff                               // 000000003178: 8652FF52 00FFFFFF
	v_mul_lo_u32 v7, v4, s82                                   // 000000003180: D2850007 0000A504
	v_add_u32_e32 v58, v6, v7                                  // 000000003188: 68740F06
	v_mul_lo_u32 v58, v58, s68                                 // 00000000318C: D285003A 0000893A
	v_readlane_b32 s82, v3, 6                                  // 000000003194: D2890052 00010D03
	s_and_b32 s82, s82, 0xffffff                               // 00000000319C: 8652FF52 00FFFFFF
	v_mul_lo_u32 v6, v5, s82                                   // 0000000031A4: D2850006 0000A505
	v_readlane_b32 s82, v3, 7                                  // 0000000031AC: D2890052 00010F03
	s_and_b32 s82, s82, 0xffffff                               // 0000000031B4: 8652FF52 00FFFFFF
	v_mul_lo_u32 v7, v4, s82                                   // 0000000031BC: D2850007 0000A504
	v_add_u32_e32 v59, v6, v7                                  // 0000000031C4: 68760F06
	v_mul_lo_u32 v59, v59, s68                                 // 0000000031C8: D285003B 0000893B
	v_readlane_b32 s82, v3, 8                                  // 0000000031D0: D2890052 00011103
	s_and_b32 s82, s82, 0xffffff                               // 0000000031D8: 8652FF52 00FFFFFF
	v_mul_lo_u32 v6, v5, s82                                   // 0000000031E0: D2850006 0000A505
	v_readlane_b32 s82, v3, 9                                  // 0000000031E8: D2890052 00011303
	s_and_b32 s82, s82, 0xffffff                               // 0000000031F0: 8652FF52 00FFFFFF
	v_mul_lo_u32 v7, v4, s82                                   // 0000000031F8: D2850007 0000A504
	v_add_u32_e32 v60, v6, v7                                  // 000000003200: 68780F06
	v_mul_lo_u32 v60, v60, s68                                 // 000000003204: D285003C 0000893C
	v_readlane_b32 s82, v3, 10                                 // 00000000320C: D2890052 00011503
	s_and_b32 s82, s82, 0xffffff                               // 000000003214: 8652FF52 00FFFFFF
	v_mul_lo_u32 v6, v5, s82                                   // 00000000321C: D2850006 0000A505
	v_readlane_b32 s82, v3, 11                                 // 000000003224: D2890052 00011703
	s_and_b32 s82, s82, 0xffffff                               // 00000000322C: 8652FF52 00FFFFFF
	v_mul_lo_u32 v7, v4, s82                                   // 000000003234: D2850007 0000A504
	v_add_u32_e32 v61, v6, v7                                  // 00000000323C: 687A0F06
	v_mul_lo_u32 v61, v61, s68                                 // 000000003240: D285003D 0000893D
	v_readlane_b32 s82, v3, 12                                 // 000000003248: D2890052 00011903
	s_and_b32 s82, s82, 0xffffff                               // 000000003250: 8652FF52 00FFFFFF
	v_mul_lo_u32 v6, v5, s82                                   // 000000003258: D2850006 0000A505
	v_readlane_b32 s82, v3, 13                                 // 000000003260: D2890052 00011B03
	s_and_b32 s82, s82, 0xffffff                               // 000000003268: 8652FF52 00FFFFFF
	v_mul_lo_u32 v7, v4, s82                                   // 000000003270: D2850007 0000A504
	v_add_u32_e32 v62, v6, v7                                  // 000000003278: 687C0F06
	v_mul_lo_u32 v62, v62, s68                                 // 00000000327C: D285003E 0000893E
	v_readlane_b32 s82, v3, 14                                 // 000000003284: D2890052 00011D03
	s_and_b32 s82, s82, 0xffffff                               // 00000000328C: 8652FF52 00FFFFFF
	v_mul_lo_u32 v6, v5, s82                                   // 000000003294: D2850006 0000A505
	v_readlane_b32 s82, v3, 15                                 // 00000000329C: D2890052 00011F03
	s_and_b32 s82, s82, 0xffffff                               // 0000000032A4: 8652FF52 00FFFFFF
	v_mul_lo_u32 v7, v4, s82                                   // 0000000032AC: D2850007 0000A504
	v_add_u32_e32 v63, v6, v7                                  // 0000000032B4: 687E0F06
	v_mul_lo_u32 v63, v63, s68                                 // 0000000032B8: D285003F 0000893F
	v_readlane_b32 s82, v3, 16                                 // 0000000032C0: D2890052 00012103
	s_and_b32 s82, s82, 0xffffff                               // 0000000032C8: 8652FF52 00FFFFFF
	v_mul_lo_u32 v6, v5, s82                                   // 0000000032D0: D2850006 0000A505
	v_readlane_b32 s82, v3, 17                                 // 0000000032D8: D2890052 00012303
	s_and_b32 s82, s82, 0xffffff                               // 0000000032E0: 8652FF52 00FFFFFF
	v_mul_lo_u32 v7, v4, s82                                   // 0000000032E8: D2850007 0000A504
	v_add_u32_e32 v64, v6, v7                                  // 0000000032F0: 68800F06
	v_mul_lo_u32 v64, v64, s68                                 // 0000000032F4: D2850040 00008940
	v_readlane_b32 s82, v3, 18                                 // 0000000032FC: D2890052 00012503
	s_and_b32 s82, s82, 0xffffff                               // 000000003304: 8652FF52 00FFFFFF
	v_mul_lo_u32 v6, v5, s82                                   // 00000000330C: D2850006 0000A505
	v_readlane_b32 s82, v3, 19                                 // 000000003314: D2890052 00012703
	s_and_b32 s82, s82, 0xffffff                               // 00000000331C: 8652FF52 00FFFFFF
	v_mul_lo_u32 v7, v4, s82                                   // 000000003324: D2850007 0000A504
	v_add_u32_e32 v65, v6, v7                                  // 00000000332C: 68820F06
	v_mul_lo_u32 v65, v65, s68                                 // 000000003330: D2850041 00008941
	v_readlane_b32 s82, v3, 20                                 // 000000003338: D2890052 00012903
	s_and_b32 s82, s82, 0xffffff                               // 000000003340: 8652FF52 00FFFFFF
	v_mul_lo_u32 v6, v5, s82                                   // 000000003348: D2850006 0000A505
	v_readlane_b32 s82, v3, 21                                 // 000000003350: D2890052 00012B03
	s_and_b32 s82, s82, 0xffffff                               // 000000003358: 8652FF52 00FFFFFF
	v_mul_lo_u32 v7, v4, s82                                   // 000000003360: D2850007 0000A504
	v_add_u32_e32 v66, v6, v7                                  // 000000003368: 68840F06
	v_mul_lo_u32 v66, v66, s68                                 // 00000000336C: D2850042 00008942
	v_readlane_b32 s82, v3, 22                                 // 000000003374: D2890052 00012D03
	s_and_b32 s82, s82, 0xffffff                               // 00000000337C: 8652FF52 00FFFFFF
	v_mul_lo_u32 v6, v5, s82                                   // 000000003384: D2850006 0000A505
	v_readlane_b32 s82, v3, 23                                 // 00000000338C: D2890052 00012F03
	s_and_b32 s82, s82, 0xffffff                               // 000000003394: 8652FF52 00FFFFFF
	v_mul_lo_u32 v7, v4, s82                                   // 00000000339C: D2850007 0000A504
	v_add_u32_e32 v67, v6, v7                                  // 0000000033A4: 68860F06
	v_mul_lo_u32 v67, v67, s68                                 // 0000000033A8: D2850043 00008943
	v_readlane_b32 s82, v3, 24                                 // 0000000033B0: D2890052 00013103
	s_and_b32 s82, s82, 0xffffff                               // 0000000033B8: 8652FF52 00FFFFFF
	v_mul_lo_u32 v6, v5, s82                                   // 0000000033C0: D2850006 0000A505
	v_readlane_b32 s82, v3, 25                                 // 0000000033C8: D2890052 00013303
	s_and_b32 s82, s82, 0xffffff                               // 0000000033D0: 8652FF52 00FFFFFF
	v_mul_lo_u32 v7, v4, s82                                   // 0000000033D8: D2850007 0000A504
	v_add_u32_e32 v68, v6, v7                                  // 0000000033E0: 68880F06
	v_mul_lo_u32 v68, v68, s68                                 // 0000000033E4: D2850044 00008944
	v_readlane_b32 s82, v3, 26                                 // 0000000033EC: D2890052 00013503
	s_and_b32 s82, s82, 0xffffff                               // 0000000033F4: 8652FF52 00FFFFFF
	v_mul_lo_u32 v6, v5, s82                                   // 0000000033FC: D2850006 0000A505
	v_readlane_b32 s82, v3, 27                                 // 000000003404: D2890052 00013703
	s_and_b32 s82, s82, 0xffffff                               // 00000000340C: 8652FF52 00FFFFFF
	v_mul_lo_u32 v7, v4, s82                                   // 000000003414: D2850007 0000A504
	v_add_u32_e32 v69, v6, v7                                  // 00000000341C: 688A0F06
	v_mul_lo_u32 v69, v69, s68                                 // 000000003420: D2850045 00008945
	v_and_b32_e32 v4, 31, v0                                   // 000000003428: 2608009F
	v_lshlrev_b32_e32 v4, 2, v4                                // 00000000342C: 24080882
	v_add_u32_e32 v56, v56, v4                                 // 000000003430: 68700938
	v_add_u32_e32 v57, v57, v4                                 // 000000003434: 68720939
	v_add_u32_e32 v58, v58, v4                                 // 000000003438: 6874093A
	v_add_u32_e32 v59, v59, v4                                 // 00000000343C: 6876093B
	v_add_u32_e32 v60, v60, v4                                 // 000000003440: 6878093C
	v_add_u32_e32 v61, v61, v4                                 // 000000003444: 687A093D
	v_add_u32_e32 v62, v62, v4                                 // 000000003448: 687C093E
	v_add_u32_e32 v63, v63, v4                                 // 00000000344C: 687E093F
	v_add_u32_e32 v64, v64, v4                                 // 000000003450: 68800940
	v_add_u32_e32 v65, v65, v4                                 // 000000003454: 68820941
	;; [unrolled: 1-line block ×3, first 2 shown]
	v_add_u32_e32 v67, v67, v4                                 // 00000000345C: 68860943
	v_add_u32_e32 v68, v68, v4                                 // 000000003460: 68880944
	v_add_u32_e32 v69, v69, v4                                 // 000000003464: 688A0945
	v_and_b32_e32 v28, 0xffffff, v28                           // 000000003468: 263838FF 00FFFFFF
	v_lshlrev_b32_e32 v28, 2, v28                              // 000000003470: 24383882
	v_and_b32_e32 v29, 0xffffff, v29                           // 000000003474: 263A3AFF 00FFFFFF
	v_lshlrev_b32_e32 v29, 2, v29                              // 00000000347C: 243A3A82
	v_and_b32_e32 v30, 0xffffff, v30                           // 000000003480: 263C3CFF 00FFFFFF
	v_lshlrev_b32_e32 v30, 2, v30                              // 000000003488: 243C3C82
	v_and_b32_e32 v31, 0xffffff, v31                           // 00000000348C: 263E3EFF 00FFFFFF
	v_lshlrev_b32_e32 v31, 2, v31                              // 000000003494: 243E3E82
	v_and_b32_e32 v32, 0xffffff, v32                           // 000000003498: 264040FF 00FFFFFF
	v_lshlrev_b32_e32 v32, 2, v32                              // 0000000034A0: 24404082
	v_and_b32_e32 v33, 0xffffff, v33                           // 0000000034A4: 264242FF 00FFFFFF
	v_lshlrev_b32_e32 v33, 2, v33                              // 0000000034AC: 24424282
	v_and_b32_e32 v34, 0xffffff, v34                           // 0000000034B0: 264444FF 00FFFFFF
	v_lshlrev_b32_e32 v34, 2, v34                              // 0000000034B8: 24444482
	s_lshl_b32 s3, s66, 2                                      // 0000000034BC: 8E038242
	buffer_load_dword v35, v28, s[28:31], 0 offen              // 0000000034C0: E0501000 8007231C
	buffer_load_dword v36, v29, s[28:31], 0 offen              // 0000000034C8: E0501000 8007241D
	buffer_load_dword v37, v30, s[28:31], 0 offen              // 0000000034D0: E0501000 8007251E
	buffer_load_dword v38, v31, s[28:31], 0 offen              // 0000000034D8: E0501000 8007261F
	buffer_load_dword v39, v32, s[28:31], 0 offen              // 0000000034E0: E0501000 80072720
	buffer_load_dword v40, v33, s[28:31], 0 offen              // 0000000034E8: E0501000 80072821
	buffer_load_dword v41, v34, s[28:31], 0 offen              // 0000000034F0: E0501000 80072922
	buffer_load_dword v24, v22, s[32:35], 0 offen              // 0000000034F8: E0501000 80081816
	s_mul_i32 s60, 4, s65                                      // 000000003500: 923C4184
	s_add_u32 s32, s60, s32                                    // 000000003504: 8020203C
	s_addc_u32 s33, 0, s33                                     // 000000003508: 82212180
	buffer_load_dword v26, v22, s[32:35], 0 offen              // 00000000350C: E0501000 80081A16
	buffer_load_dword v56, s[20:23], 0 offen lds               // 000000003514: E0511000 80050038
	s_add_u32 m0, 0x100, s48                                   // 00000000351C: 807C30FF 00000100
	buffer_load_dword v57, s[20:23], 0 offen lds               // 000000003524: E0511000 80050039
	s_add_u32 m0, 0x200, s48                                   // 00000000352C: 807C30FF 00000200
	buffer_load_dword v58, s[20:23], 0 offen lds               // 000000003534: E0511000 8005003A
	s_add_u32 m0, 0x300, s48                                   // 00000000353C: 807C30FF 00000300
	buffer_load_dword v59, s[20:23], 0 offen lds               // 000000003544: E0511000 8005003B
	s_add_u32 m0, 0x400, s48                                   // 00000000354C: 807C30FF 00000400
	buffer_load_dword v60, s[20:23], 0 offen lds               // 000000003554: E0511000 8005003C
	s_add_u32 m0, 0x500, s48                                   // 00000000355C: 807C30FF 00000500
	buffer_load_dword v61, s[20:23], 0 offen lds               // 000000003564: E0511000 8005003D
	s_add_u32 m0, 0x600, s48                                   // 00000000356C: 807C30FF 00000600
	buffer_load_dword v62, s[20:23], 0 offen lds               // 000000003574: E0511000 8005003E
	s_add_u32 m0, 0x700, s48                                   // 00000000357C: 807C30FF 00000700
	buffer_load_dword v63, s[20:23], 0 offen lds               // 000000003584: E0511000 8005003F
	s_add_u32 m0, 0x800, s48                                   // 00000000358C: 807C30FF 00000800
	buffer_load_dword v64, s[20:23], 0 offen lds               // 000000003594: E0511000 80050040
	s_add_u32 m0, 0x900, s48                                   // 00000000359C: 807C30FF 00000900
	buffer_load_dword v65, s[20:23], 0 offen lds               // 0000000035A4: E0511000 80050041
	s_add_u32 m0, 0xa00, s48                                   // 0000000035AC: 807C30FF 00000A00
	buffer_load_dword v66, s[20:23], 0 offen lds               // 0000000035B4: E0511000 80050042
	s_add_u32 m0, 0xb00, s48                                   // 0000000035BC: 807C30FF 00000B00
	buffer_load_dword v67, s[20:23], 0 offen lds               // 0000000035C4: E0511000 80050043
	s_add_u32 m0, 0xc00, s48                                   // 0000000035CC: 807C30FF 00000C00
	buffer_load_dword v68, s[20:23], 0 offen lds               // 0000000035D4: E0511000 80050044
	s_add_u32 m0, 0xd00, s48                                   // 0000000035DC: 807C30FF 00000D00
	buffer_load_dword v69, s[20:23], 0 offen lds               // 0000000035E4: E0511000 80050045
	s_add_u32 m0, 0, s49                                       // 0000000035EC: 807C3180
	s_add_u32 s20, s57, s20                                    // 0000000035F0: 80141439
	s_addc_u32 s21, 0, s21                                     // 0000000035F4: 82151580
	buffer_load_dword v56, s[20:23], 0 offen lds               // 0000000035F8: E0511000 80050038
	s_add_u32 m0, 0x100, s49                                   // 000000003600: 807C31FF 00000100
	buffer_load_dword v57, s[20:23], 0 offen lds               // 000000003608: E0511000 80050039
	s_add_u32 m0, 0x200, s49                                   // 000000003610: 807C31FF 00000200
	buffer_load_dword v58, s[20:23], 0 offen lds               // 000000003618: E0511000 8005003A
	s_add_u32 m0, 0x300, s49                                   // 000000003620: 807C31FF 00000300
	buffer_load_dword v59, s[20:23], 0 offen lds               // 000000003628: E0511000 8005003B
	s_add_u32 m0, 0x400, s49                                   // 000000003630: 807C31FF 00000400
	buffer_load_dword v60, s[20:23], 0 offen lds               // 000000003638: E0511000 8005003C
	s_add_u32 m0, 0x500, s49                                   // 000000003640: 807C31FF 00000500
	buffer_load_dword v61, s[20:23], 0 offen lds               // 000000003648: E0511000 8005003D
	s_add_u32 m0, 0x600, s49                                   // 000000003650: 807C31FF 00000600
	buffer_load_dword v62, s[20:23], 0 offen lds               // 000000003658: E0511000 8005003E
	s_add_u32 m0, 0x700, s49                                   // 000000003660: 807C31FF 00000700
	buffer_load_dword v63, s[20:23], 0 offen lds               // 000000003668: E0511000 8005003F
	s_add_u32 m0, 0x800, s49                                   // 000000003670: 807C31FF 00000800
	buffer_load_dword v64, s[20:23], 0 offen lds               // 000000003678: E0511000 80050040
	s_add_u32 m0, 0x900, s49                                   // 000000003680: 807C31FF 00000900
	buffer_load_dword v65, s[20:23], 0 offen lds               // 000000003688: E0511000 80050041
	s_add_u32 m0, 0xa00, s49                                   // 000000003690: 807C31FF 00000A00
	buffer_load_dword v66, s[20:23], 0 offen lds               // 000000003698: E0511000 80050042
	s_add_u32 m0, 0xb00, s49                                   // 0000000036A0: 807C31FF 00000B00
	buffer_load_dword v67, s[20:23], 0 offen lds               // 0000000036A8: E0511000 80050043
	s_add_u32 m0, 0xc00, s49                                   // 0000000036B0: 807C31FF 00000C00
	buffer_load_dword v68, s[20:23], 0 offen lds               // 0000000036B8: E0511000 80050044
	s_add_u32 m0, 0xd00, s49                                   // 0000000036C0: 807C31FF 00000D00
	buffer_load_dword v69, s[20:23], 0 offen lds               // 0000000036C8: E0511000 80050045
	s_add_u32 m0, 0, s48                                       // 0000000036D0: 807C3080
	s_add_u32 s20, s57, s20                                    // 0000000036D4: 80141439
	s_addc_u32 s21, 0, s21                                     // 0000000036D8: 82151580
	buffer_load_dwordx4 a[112:115], v70, s[24:27], 0 offen     // 0000000036DC: E05C1000 80867046
	buffer_load_dwordx4 a[116:119], v70, s[24:27], 0 offen offset:1024// 0000000036E4: E05C1400 80867446
	buffer_load_dwordx4 a[120:123], v71, s[24:27], 0 offen     // 0000000036EC: E05C1000 80867847
	buffer_load_dwordx4 a[124:127], v71, s[24:27], 0 offen offset:1024// 0000000036F4: E05C1400 80867C47
	s_add_u32 s24, s58, s24                                    // 0000000036FC: 8018183A
	s_addc_u32 s25, 0, s25                                     // 000000003700: 82191980
	s_waitcnt vmcnt(18)                                        // 000000003704: BF8C4F72
	s_barrier                                                  // 000000003708: BF8A0000
	ds_read_b128 a[0:3], v2                                    // 00000000370C: DBFE0000 00000002
	ds_read_b128 a[4:7], v2 offset:64                          // 000000003714: DBFE0040 04000002
	ds_read_b128 a[8:11], v2 offset:512                        // 00000000371C: DBFE0200 08000002
	ds_read_b128 a[12:15], v2 offset:576                       // 000000003724: DBFE0240 0C000002
	ds_read_b128 a[16:19], v2 offset:1024                      // 00000000372C: DBFE0400 10000002
	ds_read_b128 a[20:23], v2 offset:1088                      // 000000003734: DBFE0440 14000002
	ds_read_b128 a[24:27], v2 offset:1536                      // 00000000373C: DBFE0600 18000002
	ds_read_b128 a[28:31], v2 offset:1600                      // 000000003744: DBFE0640 1C000002
	ds_read_b128 a[32:35], v2 offset:2048                      // 00000000374C: DBFE0800 20000002
	ds_read_b128 a[36:39], v2 offset:2112                      // 000000003754: DBFE0840 24000002
	ds_read_b128 a[40:43], v2 offset:2560                      // 00000000375C: DBFE0A00 28000002
	ds_read_b128 a[44:47], v2 offset:2624                      // 000000003764: DBFE0A40 2C000002
	ds_read_b128 a[48:51], v2 offset:3072                      // 00000000376C: DBFE0C00 30000002
	ds_read_b128 a[52:55], v2 offset:3136                      // 000000003774: DBFE0C40 34000002
	s_cmp_lt_i32 s7, 2                                         // 00000000377C: BF048207
	s_cbranch_scc0 label_16CB                                  // 000000003780: BF841367

0000000000003784 <label_0361>:
	s_waitcnt vmcnt(2) lgkmcnt(0)                              // 000000003784: BF8C0072
	s_barrier                                                  // 000000003788: BF8A0000
	v_mfma_f32_16x16x32_fp8_fp8 v[72:75], a[112:113], a[0:1], v[72:75]// 00000000378C: D3F30048 1D220170
	v_mfma_f32_16x16x32_fp8_fp8 v[72:75], a[114:115], a[2:3], v[72:75]// 000000003794: D3F30048 1D220572
	buffer_load_dwordx4 a[128:131], v70, s[84:87], 0 offen     // 00000000379C: E05C1000 80958046
	v_mfma_f32_16x16x32_fp8_fp8 v[72:75], a[116:117], a[4:5], v[72:75]// 0000000037A4: D3F30048 1D220974
	v_mfma_f32_16x16x32_fp8_fp8 v[72:75], a[118:119], a[6:7], v[72:75]// 0000000037AC: D3F30048 1D220D76
	v_mfma_f32_16x16x32_fp8_fp8 v[76:79], a[112:113], a[8:9], v[76:79]// 0000000037B4: D3F3004C 1D321170
	v_mfma_f32_16x16x32_fp8_fp8 v[76:79], a[114:115], a[10:11], v[76:79]// 0000000037BC: D3F3004C 1D321572
	buffer_load_dwordx4 a[132:135], v70, s[84:87], 0 offen offset:1024// 0000000037C4: E05C1400 80958446
	v_mfma_f32_16x16x32_fp8_fp8 v[76:79], a[116:117], a[12:13], v[76:79]// 0000000037CC: D3F3004C 1D321974
	v_mfma_f32_16x16x32_fp8_fp8 v[76:79], a[118:119], a[14:15], v[76:79]// 0000000037D4: D3F3004C 1D321D76
	v_mfma_f32_16x16x32_fp8_fp8 v[80:83], a[112:113], a[16:17], v[80:83]// 0000000037DC: D3F30050 1D422170
	v_mfma_f32_16x16x32_fp8_fp8 v[80:83], a[114:115], a[18:19], v[80:83]// 0000000037E4: D3F30050 1D422572
	buffer_load_dwordx4 a[136:139], v71, s[84:87], 0 offen     // 0000000037EC: E05C1000 80958847
	v_mfma_f32_16x16x32_fp8_fp8 v[80:83], a[116:117], a[20:21], v[80:83]// 0000000037F4: D3F30050 1D422974
	v_mfma_f32_16x16x32_fp8_fp8 v[80:83], a[118:119], a[22:23], v[80:83]// 0000000037FC: D3F30050 1D422D76
	v_mfma_f32_16x16x32_fp8_fp8 v[84:87], a[112:113], a[24:25], v[84:87]// 000000003804: D3F30054 1D523170
	v_mfma_f32_16x16x32_fp8_fp8 v[84:87], a[114:115], a[26:27], v[84:87]// 00000000380C: D3F30054 1D523572
	buffer_load_dwordx4 a[140:143], v71, s[84:87], 0 offen offset:1024// 000000003814: E05C1400 80958C47
	buffer_load_dword v56, s[20:23], 0 offen lds               // 00000000381C: E0511000 80050038
	s_add_u32 m0, 0x100, s48                                   // 000000003824: 807C30FF 00000100
	v_mfma_f32_16x16x32_fp8_fp8 v[84:87], a[116:117], a[28:29], v[84:87]// 00000000382C: D3F30054 1D523974
	v_mfma_f32_16x16x32_fp8_fp8 v[84:87], a[118:119], a[30:31], v[84:87]// 000000003834: D3F30054 1D523D76
	buffer_load_dword v57, s[20:23], 0 offen lds               // 00000000383C: E0511000 80050039
	s_add_u32 m0, 0x200, s48                                   // 000000003844: 807C30FF 00000200
	v_mfma_f32_16x16x32_fp8_fp8 v[88:91], a[112:113], a[32:33], v[88:91]// 00000000384C: D3F30058 1D624170
	v_mfma_f32_16x16x32_fp8_fp8 v[88:91], a[114:115], a[34:35], v[88:91]// 000000003854: D3F30058 1D624572
	buffer_load_dword v58, s[20:23], 0 offen lds               // 00000000385C: E0511000 8005003A
	s_add_u32 m0, 0x300, s48                                   // 000000003864: 807C30FF 00000300
	v_mfma_f32_16x16x32_fp8_fp8 v[88:91], a[116:117], a[36:37], v[88:91]// 00000000386C: D3F30058 1D624974
	v_mfma_f32_16x16x32_fp8_fp8 v[88:91], a[118:119], a[38:39], v[88:91]// 000000003874: D3F30058 1D624D76
	buffer_load_dword v59, s[20:23], 0 offen lds               // 00000000387C: E0511000 8005003B
	s_add_u32 m0, 0x400, s48                                   // 000000003884: 807C30FF 00000400
	v_mfma_f32_16x16x32_fp8_fp8 v[92:95], a[112:113], a[40:41], v[92:95]// 00000000388C: D3F3005C 1D725170
	v_mfma_f32_16x16x32_fp8_fp8 v[92:95], a[114:115], a[42:43], v[92:95]// 000000003894: D3F3005C 1D725572
	buffer_load_dword v60, s[20:23], 0 offen lds               // 00000000389C: E0511000 8005003C
	s_add_u32 m0, 0x500, s48                                   // 0000000038A4: 807C30FF 00000500
	v_mfma_f32_16x16x32_fp8_fp8 v[92:95], a[116:117], a[44:45], v[92:95]// 0000000038AC: D3F3005C 1D725974
	v_mfma_f32_16x16x32_fp8_fp8 v[92:95], a[118:119], a[46:47], v[92:95]// 0000000038B4: D3F3005C 1D725D76
	buffer_load_dword v61, s[20:23], 0 offen lds               // 0000000038BC: E0511000 8005003D
	s_add_u32 m0, 0x600, s48                                   // 0000000038C4: 807C30FF 00000600
	v_mfma_f32_16x16x32_fp8_fp8 v[96:99], a[112:113], a[48:49], v[96:99]// 0000000038CC: D3F30060 1D826170
	v_mfma_f32_16x16x32_fp8_fp8 v[96:99], a[114:115], a[50:51], v[96:99]// 0000000038D4: D3F30060 1D826572
	buffer_load_dword v62, s[20:23], 0 offen lds               // 0000000038DC: E0511000 8005003E
	s_add_u32 m0, 0x700, s48                                   // 0000000038E4: 807C30FF 00000700
	v_mfma_f32_16x16x32_fp8_fp8 v[96:99], a[116:117], a[52:53], v[96:99]// 0000000038EC: D3F30060 1D826974
	v_mfma_f32_16x16x32_fp8_fp8 v[96:99], a[118:119], a[54:55], v[96:99]// 0000000038F4: D3F30060 1D826D76
	buffer_load_dword v63, s[20:23], 0 offen lds               // 0000000038FC: E0511000 8005003F
	s_add_u32 m0, 0x800, s48                                   // 000000003904: 807C30FF 00000800
	s_waitcnt vmcnt(12)                                        // 00000000390C: BF8C0F7C
	v_mfma_f32_16x16x32_fp8_fp8 v[100:103], a[120:121], a[0:1], v[100:103]// 000000003910: D3F30064 1D920178
	v_mfma_f32_16x16x32_fp8_fp8 v[100:103], a[122:123], a[2:3], v[100:103]// 000000003918: D3F30064 1D92057A
	buffer_load_dword v64, s[20:23], 0 offen lds               // 000000003920: E0511000 80050040
	s_add_u32 m0, 0x900, s48                                   // 000000003928: 807C30FF 00000900
	v_mfma_f32_16x16x32_fp8_fp8 v[100:103], a[124:125], a[4:5], v[100:103]// 000000003930: D3F30064 1D92097C
	v_mfma_f32_16x16x32_fp8_fp8 v[100:103], a[126:127], a[6:7], v[100:103]// 000000003938: D3F30064 1D920D7E
	buffer_load_dword v65, s[20:23], 0 offen lds               // 000000003940: E0511000 80050041
	s_add_u32 m0, 0xa00, s48                                   // 000000003948: 807C30FF 00000A00
	v_mfma_f32_16x16x32_fp8_fp8 v[104:107], a[120:121], a[8:9], v[104:107]// 000000003950: D3F30068 1DA21178
	v_mfma_f32_16x16x32_fp8_fp8 v[104:107], a[122:123], a[10:11], v[104:107]// 000000003958: D3F30068 1DA2157A
	buffer_load_dword v66, s[20:23], 0 offen lds               // 000000003960: E0511000 80050042
	s_add_u32 m0, 0xb00, s48                                   // 000000003968: 807C30FF 00000B00
	v_mfma_f32_16x16x32_fp8_fp8 v[104:107], a[124:125], a[12:13], v[104:107]// 000000003970: D3F30068 1DA2197C
	v_mfma_f32_16x16x32_fp8_fp8 v[104:107], a[126:127], a[14:15], v[104:107]// 000000003978: D3F30068 1DA21D7E
	buffer_load_dword v67, s[20:23], 0 offen lds               // 000000003980: E0511000 80050043
	s_add_u32 m0, 0xc00, s48                                   // 000000003988: 807C30FF 00000C00
	v_mfma_f32_16x16x32_fp8_fp8 v[108:111], a[120:121], a[16:17], v[108:111]// 000000003990: D3F3006C 1DB22178
	v_mfma_f32_16x16x32_fp8_fp8 v[108:111], a[122:123], a[18:19], v[108:111]// 000000003998: D3F3006C 1DB2257A
	buffer_load_dword v68, s[20:23], 0 offen lds               // 0000000039A0: E0511000 80050044
	s_add_u32 m0, 0xd00, s48                                   // 0000000039A8: 807C30FF 00000D00
	v_mfma_f32_16x16x32_fp8_fp8 v[108:111], a[124:125], a[20:21], v[108:111]// 0000000039B0: D3F3006C 1DB2297C
	v_mfma_f32_16x16x32_fp8_fp8 v[108:111], a[126:127], a[22:23], v[108:111]// 0000000039B8: D3F3006C 1DB22D7E
	buffer_load_dword v69, s[20:23], 0 offen lds               // 0000000039C0: E0511000 80050045
	s_add_u32 m0, 0, s49                                       // 0000000039C8: 807C3180
	v_mfma_f32_16x16x32_fp8_fp8 v[112:115], a[120:121], a[24:25], v[112:115]// 0000000039CC: D3F30070 1DC23178
	v_mfma_f32_16x16x32_fp8_fp8 v[112:115], a[122:123], a[26:27], v[112:115]// 0000000039D4: D3F30070 1DC2357A
	v_mfma_f32_16x16x32_fp8_fp8 v[112:115], a[124:125], a[28:29], v[112:115]// 0000000039DC: D3F30070 1DC2397C
	v_mfma_f32_16x16x32_fp8_fp8 v[112:115], a[126:127], a[30:31], v[112:115]// 0000000039E4: D3F30070 1DC23D7E
	v_mfma_f32_16x16x32_fp8_fp8 v[116:119], a[120:121], a[32:33], v[116:119]// 0000000039EC: D3F30074 1DD24178
	v_mfma_f32_16x16x32_fp8_fp8 v[116:119], a[122:123], a[34:35], v[116:119]// 0000000039F4: D3F30074 1DD2457A
	v_mfma_f32_16x16x32_fp8_fp8 v[116:119], a[124:125], a[36:37], v[116:119]// 0000000039FC: D3F30074 1DD2497C
	v_mfma_f32_16x16x32_fp8_fp8 v[116:119], a[126:127], a[38:39], v[116:119]// 000000003A04: D3F30074 1DD24D7E
	v_mfma_f32_16x16x32_fp8_fp8 v[120:123], a[120:121], a[40:41], v[120:123]// 000000003A0C: D3F30078 1DE25178
	v_mfma_f32_16x16x32_fp8_fp8 v[120:123], a[122:123], a[42:43], v[120:123]// 000000003A14: D3F30078 1DE2557A
	v_mfma_f32_16x16x32_fp8_fp8 v[120:123], a[124:125], a[44:45], v[120:123]// 000000003A1C: D3F30078 1DE2597C
	v_mfma_f32_16x16x32_fp8_fp8 v[120:123], a[126:127], a[46:47], v[120:123]// 000000003A24: D3F30078 1DE25D7E
	v_mfma_f32_16x16x32_fp8_fp8 v[124:127], a[120:121], a[48:49], v[124:127]// 000000003A2C: D3F3007C 1DF26178
	v_mfma_f32_16x16x32_fp8_fp8 v[124:127], a[122:123], a[50:51], v[124:127]// 000000003A34: D3F3007C 1DF2657A
	s_add_u32 s60, 0x80, s80                                   // 000000003A3C: 803C50FF 00000080
	s_cmp_lt_u32 s60, s81                                      // 000000003A44: BF0A513C
	s_cselect_b32 s83, s83, 0                                  // 000000003A48: 85538053
	v_mfma_f32_16x16x32_fp8_fp8 v[124:127], a[124:125], a[52:53], v[124:127]// 000000003A4C: D3F3007C 1DF2697C
	v_mfma_f32_16x16x32_fp8_fp8 v[124:127], a[126:127], a[54:55], v[124:127]// 000000003A54: D3F3007C 1DF26D7E
	s_waitcnt vmcnt(14)                                        // 000000003A5C: BF8C0F7E
	v_mfma_f32_16x16x32_fp8_fp8 v[128:131], a[128:129], a[0:1], v[128:131]// 000000003A60: D3F30080 1E020180
	v_mfma_f32_16x16x32_fp8_fp8 v[128:131], a[130:131], a[2:3], v[128:131]// 000000003A68: D3F30080 1E020582
	buffer_load_dwordx4 a[112:115], v70, s[24:27], 0 offen     // 000000003A70: E05C1000 80867046
	v_mfma_f32_16x16x32_fp8_fp8 v[128:131], a[132:133], a[4:5], v[128:131]// 000000003A78: D3F30080 1E020984
	v_mfma_f32_16x16x32_fp8_fp8 v[128:131], a[134:135], a[6:7], v[128:131]// 000000003A80: D3F30080 1E020D86
	ds_read_b128 a[56:59], v2 offset:14464                     // 000000003A88: DBFE3880 38000002
	ds_read_b128 a[60:63], v2 offset:14528                     // 000000003A90: DBFE38C0 3C000002
	v_mfma_f32_16x16x32_fp8_fp8 v[156:159], a[136:137], a[0:1], v[156:159]// 000000003A98: D3F3009C 1E720188
	v_mfma_f32_16x16x32_fp8_fp8 v[156:159], a[138:139], a[2:3], v[156:159]// 000000003AA0: D3F3009C 1E72058A
	buffer_load_dwordx4 a[116:119], v70, s[24:27], 0 offen offset:1024// 000000003AA8: E05C1400 80867446
	v_mfma_f32_16x16x32_fp8_fp8 v[156:159], a[140:141], a[4:5], v[156:159]// 000000003AB0: D3F3009C 1E72098C
	v_mfma_f32_16x16x32_fp8_fp8 v[156:159], a[142:143], a[6:7], v[156:159]// 000000003AB8: D3F3009C 1E720D8E
	ds_read_b128 a[64:67], v2 offset:14976                     // 000000003AC0: DBFE3A80 40000002
	ds_read_b128 a[68:71], v2 offset:15040                     // 000000003AC8: DBFE3AC0 44000002
	v_mfma_f32_16x16x32_fp8_fp8 v[132:135], a[128:129], a[8:9], v[132:135]// 000000003AD0: D3F30084 1E121180
	v_mfma_f32_16x16x32_fp8_fp8 v[132:135], a[130:131], a[10:11], v[132:135]// 000000003AD8: D3F30084 1E121582
	buffer_load_dwordx4 a[120:123], v71, s[24:27], 0 offen     // 000000003AE0: E05C1000 80867847
	v_mfma_f32_16x16x32_fp8_fp8 v[132:135], a[132:133], a[12:13], v[132:135]// 000000003AE8: D3F30084 1E121984
	v_mfma_f32_16x16x32_fp8_fp8 v[132:135], a[134:135], a[14:15], v[132:135]// 000000003AF0: D3F30084 1E121D86
	ds_read_b128 a[72:75], v2 offset:15488                     // 000000003AF8: DBFE3C80 48000002
	ds_read_b128 a[76:79], v2 offset:15552                     // 000000003B00: DBFE3CC0 4C000002
	v_mfma_f32_16x16x32_fp8_fp8 v[160:163], a[136:137], a[8:9], v[160:163]// 000000003B08: D3F300A0 1E821188
	v_mfma_f32_16x16x32_fp8_fp8 v[160:163], a[138:139], a[10:11], v[160:163]// 000000003B10: D3F300A0 1E82158A
	buffer_load_dwordx4 a[124:127], v71, s[24:27], 0 offen offset:1024// 000000003B18: E05C1400 80867C47
	v_mfma_f32_16x16x32_fp8_fp8 v[160:163], a[140:141], a[12:13], v[160:163]// 000000003B20: D3F300A0 1E82198C
	v_mfma_f32_16x16x32_fp8_fp8 v[160:163], a[142:143], a[14:15], v[160:163]// 000000003B28: D3F300A0 1E821D8E
	ds_read_b128 a[80:83], v2 offset:16000                     // 000000003B30: DBFE3E80 50000002
	ds_read_b128 a[84:87], v2 offset:16064                     // 000000003B38: DBFE3EC0 54000002
	v_mfma_f32_16x16x32_fp8_fp8 v[136:139], a[128:129], a[16:17], v[136:139]// 000000003B40: D3F30088 1E222180
	v_mfma_f32_16x16x32_fp8_fp8 v[136:139], a[130:131], a[18:19], v[136:139]// 000000003B48: D3F30088 1E222582
	v_mfma_f32_16x16x32_fp8_fp8 v[136:139], a[132:133], a[20:21], v[136:139]// 000000003B50: D3F30088 1E222984
	v_mfma_f32_16x16x32_fp8_fp8 v[136:139], a[134:135], a[22:23], v[136:139]// 000000003B58: D3F30088 1E222D86
	ds_read_b128 a[88:91], v2 offset:16512                     // 000000003B60: DBFE4080 58000002
	ds_read_b128 a[92:95], v2 offset:16576                     // 000000003B68: DBFE40C0 5C000002
	v_mfma_f32_16x16x32_fp8_fp8 v[164:167], a[136:137], a[16:17], v[164:167]// 000000003B70: D3F300A4 1E922188
	v_mfma_f32_16x16x32_fp8_fp8 v[164:167], a[138:139], a[18:19], v[164:167]// 000000003B78: D3F300A4 1E92258A
	v_mfma_f32_16x16x32_fp8_fp8 v[164:167], a[140:141], a[20:21], v[164:167]// 000000003B80: D3F300A4 1E92298C
	v_mfma_f32_16x16x32_fp8_fp8 v[164:167], a[142:143], a[22:23], v[164:167]// 000000003B88: D3F300A4 1E922D8E
	ds_read_b128 a[96:99], v2 offset:17024                     // 000000003B90: DBFE4280 60000002
	ds_read_b128 a[100:103], v2 offset:17088                   // 000000003B98: DBFE42C0 64000002
	v_mfma_f32_16x16x32_fp8_fp8 v[140:143], a[128:129], a[24:25], v[140:143]// 000000003BA0: D3F3008C 1E323180
	v_mfma_f32_16x16x32_fp8_fp8 v[140:143], a[130:131], a[26:27], v[140:143]// 000000003BA8: D3F3008C 1E323582
	v_mfma_f32_16x16x32_fp8_fp8 v[140:143], a[132:133], a[28:29], v[140:143]// 000000003BB0: D3F3008C 1E323984
	v_mfma_f32_16x16x32_fp8_fp8 v[140:143], a[134:135], a[30:31], v[140:143]// 000000003BB8: D3F3008C 1E323D86
	ds_read_b128 a[104:107], v2 offset:17536                   // 000000003BC0: DBFE4480 68000002
	ds_read_b128 a[108:111], v2 offset:17600                   // 000000003BC8: DBFE44C0 6C000002
	v_mfma_f32_16x16x32_fp8_fp8 v[168:171], a[136:137], a[24:25], v[168:171]// 000000003BD0: D3F300A8 1EA23188
	v_mfma_f32_16x16x32_fp8_fp8 v[168:171], a[138:139], a[26:27], v[168:171]// 000000003BD8: D3F300A8 1EA2358A
	v_mfma_f32_16x16x32_fp8_fp8 v[168:171], a[140:141], a[28:29], v[168:171]// 000000003BE0: D3F300A8 1EA2398C
	v_mfma_f32_16x16x32_fp8_fp8 v[168:171], a[142:143], a[30:31], v[168:171]// 000000003BE8: D3F300A8 1EA23D8E
	v_mfma_f32_16x16x32_fp8_fp8 v[144:147], a[128:129], a[32:33], v[144:147]// 000000003BF0: D3F30090 1E424180
	v_mfma_f32_16x16x32_fp8_fp8 v[144:147], a[130:131], a[34:35], v[144:147]// 000000003BF8: D3F30090 1E424582
	v_mfma_f32_16x16x32_fp8_fp8 v[144:147], a[132:133], a[36:37], v[144:147]// 000000003C00: D3F30090 1E424984
	v_mfma_f32_16x16x32_fp8_fp8 v[144:147], a[134:135], a[38:39], v[144:147]// 000000003C08: D3F30090 1E424D86
	v_mfma_f32_16x16x32_fp8_fp8 v[172:175], a[136:137], a[32:33], v[172:175]// 000000003C10: D3F300AC 1EB24188
	v_mfma_f32_16x16x32_fp8_fp8 v[172:175], a[138:139], a[34:35], v[172:175]// 000000003C18: D3F300AC 1EB2458A
	v_mfma_f32_16x16x32_fp8_fp8 v[172:175], a[140:141], a[36:37], v[172:175]// 000000003C20: D3F300AC 1EB2498C
	v_mfma_f32_16x16x32_fp8_fp8 v[172:175], a[142:143], a[38:39], v[172:175]// 000000003C28: D3F300AC 1EB24D8E
	v_mfma_f32_16x16x32_fp8_fp8 v[148:151], a[128:129], a[40:41], v[148:151]// 000000003C30: D3F30094 1E525180
	v_mfma_f32_16x16x32_fp8_fp8 v[148:151], a[130:131], a[42:43], v[148:151]// 000000003C38: D3F30094 1E525582
	v_mfma_f32_16x16x32_fp8_fp8 v[148:151], a[132:133], a[44:45], v[148:151]// 000000003C40: D3F30094 1E525984
	v_mfma_f32_16x16x32_fp8_fp8 v[148:151], a[134:135], a[46:47], v[148:151]// 000000003C48: D3F30094 1E525D86
	v_mfma_f32_16x16x32_fp8_fp8 v[176:179], a[136:137], a[40:41], v[176:179]// 000000003C50: D3F300B0 1EC25188
	v_mfma_f32_16x16x32_fp8_fp8 v[176:179], a[138:139], a[42:43], v[176:179]// 000000003C58: D3F300B0 1EC2558A
	v_mfma_f32_16x16x32_fp8_fp8 v[176:179], a[140:141], a[44:45], v[176:179]// 000000003C60: D3F300B0 1EC2598C
	v_mfma_f32_16x16x32_fp8_fp8 v[176:179], a[142:143], a[46:47], v[176:179]// 000000003C68: D3F300B0 1EC25D8E
	v_mfma_f32_16x16x32_fp8_fp8 v[152:155], a[128:129], a[48:49], v[152:155]// 000000003C70: D3F30098 1E626180
	v_mfma_f32_16x16x32_fp8_fp8 v[152:155], a[130:131], a[50:51], v[152:155]// 000000003C78: D3F30098 1E626582
	v_mfma_f32_16x16x32_fp8_fp8 v[152:155], a[132:133], a[52:53], v[152:155]// 000000003C80: D3F30098 1E626984
	s_add_u32 s60, 0x180, s80                                  // 000000003C88: 803C50FF 00000180
	s_cmp_lt_u32 s60, s81                                      // 000000003C90: BF0A513C
	s_cselect_b32 s57, s57, 0                                  // 000000003C94: 85398039
	v_mfma_f32_16x16x32_fp8_fp8 v[152:155], a[134:135], a[54:55], v[152:155]// 000000003C98: D3F30098 1E626D86
	s_add_u32 s60, 0x100, s80                                  // 000000003CA0: 803C50FF 00000100
	s_cmp_lt_u32 s60, s81                                      // 000000003CA8: BF0A513C
	s_cselect_b32 s58, s58, 0                                  // 000000003CAC: 853A803A
	v_mfma_f32_16x16x32_fp8_fp8 v[180:183], a[136:137], a[48:49], v[180:183]// 000000003CB0: D3F300B4 1ED26188
	s_add_u32 s24, s58, s24                                    // 000000003CB8: 8018183A
	s_addc_u32 s25, 0, s25                                     // 000000003CBC: 82191980
	v_mfma_f32_16x16x32_fp8_fp8 v[180:183], a[138:139], a[50:51], v[180:183]// 000000003CC0: D3F300B4 1ED2658A
	s_add_u32 s20, s57, s20                                    // 000000003CC8: 80141439
	s_addc_u32 s21, 0, s21                                     // 000000003CCC: 82151580
	v_mfma_f32_16x16x32_fp8_fp8 v[180:183], a[140:141], a[52:53], v[180:183]// 000000003CD0: D3F300B4 1ED2698C
	s_add_u32 s84, s83, s84                                    // 000000003CD8: 80545453
	s_addc_u32 s85, 0, s85                                     // 000000003CDC: 82555580
	v_mfma_f32_16x16x32_fp8_fp8 v[180:183], a[142:143], a[54:55], v[180:183]// 000000003CE0: D3F300B4 1ED26D8E
	s_addk_i32 s80, 0x80                                       // 000000003CE8: B7500080
	s_cmp_lt_i32 s80, s81                                      // 000000003CEC: BF045150
	s_cbranch_scc0 label_061A                                  // 000000003CF0: BF84015D
	s_waitcnt vmcnt(2) lgkmcnt(0)                              // 000000003CF4: BF8C0072
	s_barrier                                                  // 000000003CF8: BF8A0000
	v_mfma_f32_16x16x32_fp8_fp8 v[72:75], a[112:113], a[56:57], v[72:75]// 000000003CFC: D3F30048 1D227170
	v_mfma_f32_16x16x32_fp8_fp8 v[72:75], a[114:115], a[58:59], v[72:75]// 000000003D04: D3F30048 1D227572
	buffer_load_dwordx4 a[128:131], v70, s[84:87], 0 offen     // 000000003D0C: E05C1000 80958046
	v_mfma_f32_16x16x32_fp8_fp8 v[72:75], a[116:117], a[60:61], v[72:75]// 000000003D14: D3F30048 1D227974
	v_mfma_f32_16x16x32_fp8_fp8 v[72:75], a[118:119], a[62:63], v[72:75]// 000000003D1C: D3F30048 1D227D76
	v_mfma_f32_16x16x32_fp8_fp8 v[76:79], a[112:113], a[64:65], v[76:79]// 000000003D24: D3F3004C 1D328170
	v_mfma_f32_16x16x32_fp8_fp8 v[76:79], a[114:115], a[66:67], v[76:79]// 000000003D2C: D3F3004C 1D328572
	buffer_load_dwordx4 a[132:135], v70, s[84:87], 0 offen offset:1024// 000000003D34: E05C1400 80958446
	v_mfma_f32_16x16x32_fp8_fp8 v[76:79], a[116:117], a[68:69], v[76:79]// 000000003D3C: D3F3004C 1D328974
	v_mfma_f32_16x16x32_fp8_fp8 v[76:79], a[118:119], a[70:71], v[76:79]// 000000003D44: D3F3004C 1D328D76
	v_mfma_f32_16x16x32_fp8_fp8 v[80:83], a[112:113], a[72:73], v[80:83]// 000000003D4C: D3F30050 1D429170
	v_mfma_f32_16x16x32_fp8_fp8 v[80:83], a[114:115], a[74:75], v[80:83]// 000000003D54: D3F30050 1D429572
	buffer_load_dwordx4 a[136:139], v71, s[84:87], 0 offen     // 000000003D5C: E05C1000 80958847
	v_mfma_f32_16x16x32_fp8_fp8 v[80:83], a[116:117], a[76:77], v[80:83]// 000000003D64: D3F30050 1D429974
	v_mfma_f32_16x16x32_fp8_fp8 v[80:83], a[118:119], a[78:79], v[80:83]// 000000003D6C: D3F30050 1D429D76
	v_mfma_f32_16x16x32_fp8_fp8 v[84:87], a[112:113], a[80:81], v[84:87]// 000000003D74: D3F30054 1D52A170
	v_mfma_f32_16x16x32_fp8_fp8 v[84:87], a[114:115], a[82:83], v[84:87]// 000000003D7C: D3F30054 1D52A572
	buffer_load_dwordx4 a[140:143], v71, s[84:87], 0 offen offset:1024// 000000003D84: E05C1400 80958C47
	buffer_load_dword v56, s[20:23], 0 offen lds               // 000000003D8C: E0511000 80050038
	s_add_u32 m0, 0x100, s49                                   // 000000003D94: 807C31FF 00000100
	v_mfma_f32_16x16x32_fp8_fp8 v[84:87], a[116:117], a[84:85], v[84:87]// 000000003D9C: D3F30054 1D52A974
	v_mfma_f32_16x16x32_fp8_fp8 v[84:87], a[118:119], a[86:87], v[84:87]// 000000003DA4: D3F30054 1D52AD76
	buffer_load_dword v57, s[20:23], 0 offen lds               // 000000003DAC: E0511000 80050039
	s_add_u32 m0, 0x200, s49                                   // 000000003DB4: 807C31FF 00000200
	v_mfma_f32_16x16x32_fp8_fp8 v[88:91], a[112:113], a[88:89], v[88:91]// 000000003DBC: D3F30058 1D62B170
	v_mfma_f32_16x16x32_fp8_fp8 v[88:91], a[114:115], a[90:91], v[88:91]// 000000003DC4: D3F30058 1D62B572
	buffer_load_dword v58, s[20:23], 0 offen lds               // 000000003DCC: E0511000 8005003A
	s_add_u32 m0, 0x300, s49                                   // 000000003DD4: 807C31FF 00000300
	v_mfma_f32_16x16x32_fp8_fp8 v[88:91], a[116:117], a[92:93], v[88:91]// 000000003DDC: D3F30058 1D62B974
	v_mfma_f32_16x16x32_fp8_fp8 v[88:91], a[118:119], a[94:95], v[88:91]// 000000003DE4: D3F30058 1D62BD76
	buffer_load_dword v59, s[20:23], 0 offen lds               // 000000003DEC: E0511000 8005003B
	s_add_u32 m0, 0x400, s49                                   // 000000003DF4: 807C31FF 00000400
	v_mfma_f32_16x16x32_fp8_fp8 v[92:95], a[112:113], a[96:97], v[92:95]// 000000003DFC: D3F3005C 1D72C170
	v_mfma_f32_16x16x32_fp8_fp8 v[92:95], a[114:115], a[98:99], v[92:95]// 000000003E04: D3F3005C 1D72C572
	buffer_load_dword v60, s[20:23], 0 offen lds               // 000000003E0C: E0511000 8005003C
	s_add_u32 m0, 0x500, s49                                   // 000000003E14: 807C31FF 00000500
	v_mfma_f32_16x16x32_fp8_fp8 v[92:95], a[116:117], a[100:101], v[92:95]// 000000003E1C: D3F3005C 1D72C974
	v_mfma_f32_16x16x32_fp8_fp8 v[92:95], a[118:119], a[102:103], v[92:95]// 000000003E24: D3F3005C 1D72CD76
	buffer_load_dword v61, s[20:23], 0 offen lds               // 000000003E2C: E0511000 8005003D
	s_add_u32 m0, 0x600, s49                                   // 000000003E34: 807C31FF 00000600
	v_mfma_f32_16x16x32_fp8_fp8 v[96:99], a[112:113], a[104:105], v[96:99]// 000000003E3C: D3F30060 1D82D170
	v_mfma_f32_16x16x32_fp8_fp8 v[96:99], a[114:115], a[106:107], v[96:99]// 000000003E44: D3F30060 1D82D572
	buffer_load_dword v62, s[20:23], 0 offen lds               // 000000003E4C: E0511000 8005003E
	s_add_u32 m0, 0x700, s49                                   // 000000003E54: 807C31FF 00000700
	v_mfma_f32_16x16x32_fp8_fp8 v[96:99], a[116:117], a[108:109], v[96:99]// 000000003E5C: D3F30060 1D82D974
	v_mfma_f32_16x16x32_fp8_fp8 v[96:99], a[118:119], a[110:111], v[96:99]// 000000003E64: D3F30060 1D82DD76
	buffer_load_dword v63, s[20:23], 0 offen lds               // 000000003E6C: E0511000 8005003F
	s_add_u32 m0, 0x800, s49                                   // 000000003E74: 807C31FF 00000800
	s_waitcnt vmcnt(12)                                        // 000000003E7C: BF8C0F7C
	v_mfma_f32_16x16x32_fp8_fp8 v[100:103], a[120:121], a[56:57], v[100:103]// 000000003E80: D3F30064 1D927178
	v_mfma_f32_16x16x32_fp8_fp8 v[100:103], a[122:123], a[58:59], v[100:103]// 000000003E88: D3F30064 1D92757A
	buffer_load_dword v64, s[20:23], 0 offen lds               // 000000003E90: E0511000 80050040
	s_add_u32 m0, 0x900, s49                                   // 000000003E98: 807C31FF 00000900
	v_mfma_f32_16x16x32_fp8_fp8 v[100:103], a[124:125], a[60:61], v[100:103]// 000000003EA0: D3F30064 1D92797C
	v_mfma_f32_16x16x32_fp8_fp8 v[100:103], a[126:127], a[62:63], v[100:103]// 000000003EA8: D3F30064 1D927D7E
	buffer_load_dword v65, s[20:23], 0 offen lds               // 000000003EB0: E0511000 80050041
	s_add_u32 m0, 0xa00, s49                                   // 000000003EB8: 807C31FF 00000A00
	v_mfma_f32_16x16x32_fp8_fp8 v[104:107], a[120:121], a[64:65], v[104:107]// 000000003EC0: D3F30068 1DA28178
	v_mfma_f32_16x16x32_fp8_fp8 v[104:107], a[122:123], a[66:67], v[104:107]// 000000003EC8: D3F30068 1DA2857A
	buffer_load_dword v66, s[20:23], 0 offen lds               // 000000003ED0: E0511000 80050042
	s_add_u32 m0, 0xb00, s49                                   // 000000003ED8: 807C31FF 00000B00
	v_mfma_f32_16x16x32_fp8_fp8 v[104:107], a[124:125], a[68:69], v[104:107]// 000000003EE0: D3F30068 1DA2897C
	v_mfma_f32_16x16x32_fp8_fp8 v[104:107], a[126:127], a[70:71], v[104:107]// 000000003EE8: D3F30068 1DA28D7E
	buffer_load_dword v67, s[20:23], 0 offen lds               // 000000003EF0: E0511000 80050043
	s_add_u32 m0, 0xc00, s49                                   // 000000003EF8: 807C31FF 00000C00
	v_mfma_f32_16x16x32_fp8_fp8 v[108:111], a[120:121], a[72:73], v[108:111]// 000000003F00: D3F3006C 1DB29178
	v_mfma_f32_16x16x32_fp8_fp8 v[108:111], a[122:123], a[74:75], v[108:111]// 000000003F08: D3F3006C 1DB2957A
	buffer_load_dword v68, s[20:23], 0 offen lds               // 000000003F10: E0511000 80050044
	s_add_u32 m0, 0xd00, s49                                   // 000000003F18: 807C31FF 00000D00
	v_mfma_f32_16x16x32_fp8_fp8 v[108:111], a[124:125], a[76:77], v[108:111]// 000000003F20: D3F3006C 1DB2997C
	v_mfma_f32_16x16x32_fp8_fp8 v[108:111], a[126:127], a[78:79], v[108:111]// 000000003F28: D3F3006C 1DB29D7E
	buffer_load_dword v69, s[20:23], 0 offen lds               // 000000003F30: E0511000 80050045
	s_add_u32 m0, 0, s48                                       // 000000003F38: 807C3080
	v_mfma_f32_16x16x32_fp8_fp8 v[112:115], a[120:121], a[80:81], v[112:115]// 000000003F3C: D3F30070 1DC2A178
	v_mfma_f32_16x16x32_fp8_fp8 v[112:115], a[122:123], a[82:83], v[112:115]// 000000003F44: D3F30070 1DC2A57A
	v_mfma_f32_16x16x32_fp8_fp8 v[112:115], a[124:125], a[84:85], v[112:115]// 000000003F4C: D3F30070 1DC2A97C
	v_mfma_f32_16x16x32_fp8_fp8 v[112:115], a[126:127], a[86:87], v[112:115]// 000000003F54: D3F30070 1DC2AD7E
	v_mfma_f32_16x16x32_fp8_fp8 v[116:119], a[120:121], a[88:89], v[116:119]// 000000003F5C: D3F30074 1DD2B178
	v_mfma_f32_16x16x32_fp8_fp8 v[116:119], a[122:123], a[90:91], v[116:119]// 000000003F64: D3F30074 1DD2B57A
	v_mfma_f32_16x16x32_fp8_fp8 v[116:119], a[124:125], a[92:93], v[116:119]// 000000003F6C: D3F30074 1DD2B97C
	v_mfma_f32_16x16x32_fp8_fp8 v[116:119], a[126:127], a[94:95], v[116:119]// 000000003F74: D3F30074 1DD2BD7E
	v_mfma_f32_16x16x32_fp8_fp8 v[120:123], a[120:121], a[96:97], v[120:123]// 000000003F7C: D3F30078 1DE2C178
	v_mfma_f32_16x16x32_fp8_fp8 v[120:123], a[122:123], a[98:99], v[120:123]// 000000003F84: D3F30078 1DE2C57A
	v_mfma_f32_16x16x32_fp8_fp8 v[120:123], a[124:125], a[100:101], v[120:123]// 000000003F8C: D3F30078 1DE2C97C
	v_mfma_f32_16x16x32_fp8_fp8 v[120:123], a[126:127], a[102:103], v[120:123]// 000000003F94: D3F30078 1DE2CD7E
	v_mfma_f32_16x16x32_fp8_fp8 v[124:127], a[120:121], a[104:105], v[124:127]// 000000003F9C: D3F3007C 1DF2D178
	v_mfma_f32_16x16x32_fp8_fp8 v[124:127], a[122:123], a[106:107], v[124:127]// 000000003FA4: D3F3007C 1DF2D57A
	s_add_u32 s60, 0x80, s80                                   // 000000003FAC: 803C50FF 00000080
	s_cmp_lt_u32 s60, s81                                      // 000000003FB4: BF0A513C
	s_cselect_b32 s83, s83, 0                                  // 000000003FB8: 85538053
	v_mfma_f32_16x16x32_fp8_fp8 v[124:127], a[124:125], a[108:109], v[124:127]// 000000003FBC: D3F3007C 1DF2D97C
	v_mfma_f32_16x16x32_fp8_fp8 v[124:127], a[126:127], a[110:111], v[124:127]// 000000003FC4: D3F3007C 1DF2DD7E
	s_waitcnt vmcnt(14)                                        // 000000003FCC: BF8C0F7E
	v_mfma_f32_16x16x32_fp8_fp8 v[128:131], a[128:129], a[56:57], v[128:131]// 000000003FD0: D3F30080 1E027180
	v_mfma_f32_16x16x32_fp8_fp8 v[128:131], a[130:131], a[58:59], v[128:131]// 000000003FD8: D3F30080 1E027582
	buffer_load_dwordx4 a[112:115], v70, s[24:27], 0 offen     // 000000003FE0: E05C1000 80867046
	v_mfma_f32_16x16x32_fp8_fp8 v[128:131], a[132:133], a[60:61], v[128:131]// 000000003FE8: D3F30080 1E027984
	v_mfma_f32_16x16x32_fp8_fp8 v[128:131], a[134:135], a[62:63], v[128:131]// 000000003FF0: D3F30080 1E027D86
	ds_read_b128 a[0:3], v2                                    // 000000003FF8: DBFE0000 00000002
	ds_read_b128 a[4:7], v2 offset:64                          // 000000004000: DBFE0040 04000002
	v_mfma_f32_16x16x32_fp8_fp8 v[156:159], a[136:137], a[56:57], v[156:159]// 000000004008: D3F3009C 1E727188
	v_mfma_f32_16x16x32_fp8_fp8 v[156:159], a[138:139], a[58:59], v[156:159]// 000000004010: D3F3009C 1E72758A
	buffer_load_dwordx4 a[116:119], v70, s[24:27], 0 offen offset:1024// 000000004018: E05C1400 80867446
	v_mfma_f32_16x16x32_fp8_fp8 v[156:159], a[140:141], a[60:61], v[156:159]// 000000004020: D3F3009C 1E72798C
	v_mfma_f32_16x16x32_fp8_fp8 v[156:159], a[142:143], a[62:63], v[156:159]// 000000004028: D3F3009C 1E727D8E
	ds_read_b128 a[8:11], v2 offset:512                        // 000000004030: DBFE0200 08000002
	ds_read_b128 a[12:15], v2 offset:576                       // 000000004038: DBFE0240 0C000002
	v_mfma_f32_16x16x32_fp8_fp8 v[132:135], a[128:129], a[64:65], v[132:135]// 000000004040: D3F30084 1E128180
	v_mfma_f32_16x16x32_fp8_fp8 v[132:135], a[130:131], a[66:67], v[132:135]// 000000004048: D3F30084 1E128582
	buffer_load_dwordx4 a[120:123], v71, s[24:27], 0 offen     // 000000004050: E05C1000 80867847
	v_mfma_f32_16x16x32_fp8_fp8 v[132:135], a[132:133], a[68:69], v[132:135]// 000000004058: D3F30084 1E128984
	v_mfma_f32_16x16x32_fp8_fp8 v[132:135], a[134:135], a[70:71], v[132:135]// 000000004060: D3F30084 1E128D86
	ds_read_b128 a[16:19], v2 offset:1024                      // 000000004068: DBFE0400 10000002
	ds_read_b128 a[20:23], v2 offset:1088                      // 000000004070: DBFE0440 14000002
	v_mfma_f32_16x16x32_fp8_fp8 v[160:163], a[136:137], a[64:65], v[160:163]// 000000004078: D3F300A0 1E828188
	v_mfma_f32_16x16x32_fp8_fp8 v[160:163], a[138:139], a[66:67], v[160:163]// 000000004080: D3F300A0 1E82858A
	buffer_load_dwordx4 a[124:127], v71, s[24:27], 0 offen offset:1024// 000000004088: E05C1400 80867C47
	v_mfma_f32_16x16x32_fp8_fp8 v[160:163], a[140:141], a[68:69], v[160:163]// 000000004090: D3F300A0 1E82898C
	v_mfma_f32_16x16x32_fp8_fp8 v[160:163], a[142:143], a[70:71], v[160:163]// 000000004098: D3F300A0 1E828D8E
	ds_read_b128 a[24:27], v2 offset:1536                      // 0000000040A0: DBFE0600 18000002
	ds_read_b128 a[28:31], v2 offset:1600                      // 0000000040A8: DBFE0640 1C000002
	v_mfma_f32_16x16x32_fp8_fp8 v[136:139], a[128:129], a[72:73], v[136:139]// 0000000040B0: D3F30088 1E229180
	v_mfma_f32_16x16x32_fp8_fp8 v[136:139], a[130:131], a[74:75], v[136:139]// 0000000040B8: D3F30088 1E229582
	v_mfma_f32_16x16x32_fp8_fp8 v[136:139], a[132:133], a[76:77], v[136:139]// 0000000040C0: D3F30088 1E229984
	v_mfma_f32_16x16x32_fp8_fp8 v[136:139], a[134:135], a[78:79], v[136:139]// 0000000040C8: D3F30088 1E229D86
	ds_read_b128 a[32:35], v2 offset:2048                      // 0000000040D0: DBFE0800 20000002
	ds_read_b128 a[36:39], v2 offset:2112                      // 0000000040D8: DBFE0840 24000002
	v_mfma_f32_16x16x32_fp8_fp8 v[164:167], a[136:137], a[72:73], v[164:167]// 0000000040E0: D3F300A4 1E929188
	v_mfma_f32_16x16x32_fp8_fp8 v[164:167], a[138:139], a[74:75], v[164:167]// 0000000040E8: D3F300A4 1E92958A
	v_mfma_f32_16x16x32_fp8_fp8 v[164:167], a[140:141], a[76:77], v[164:167]// 0000000040F0: D3F300A4 1E92998C
	v_mfma_f32_16x16x32_fp8_fp8 v[164:167], a[142:143], a[78:79], v[164:167]// 0000000040F8: D3F300A4 1E929D8E
	ds_read_b128 a[40:43], v2 offset:2560                      // 000000004100: DBFE0A00 28000002
	ds_read_b128 a[44:47], v2 offset:2624                      // 000000004108: DBFE0A40 2C000002
	v_mfma_f32_16x16x32_fp8_fp8 v[140:143], a[128:129], a[80:81], v[140:143]// 000000004110: D3F3008C 1E32A180
	v_mfma_f32_16x16x32_fp8_fp8 v[140:143], a[130:131], a[82:83], v[140:143]// 000000004118: D3F3008C 1E32A582
	v_mfma_f32_16x16x32_fp8_fp8 v[140:143], a[132:133], a[84:85], v[140:143]// 000000004120: D3F3008C 1E32A984
	v_mfma_f32_16x16x32_fp8_fp8 v[140:143], a[134:135], a[86:87], v[140:143]// 000000004128: D3F3008C 1E32AD86
	ds_read_b128 a[48:51], v2 offset:3072                      // 000000004130: DBFE0C00 30000002
	ds_read_b128 a[52:55], v2 offset:3136                      // 000000004138: DBFE0C40 34000002
	v_mfma_f32_16x16x32_fp8_fp8 v[168:171], a[136:137], a[80:81], v[168:171]// 000000004140: D3F300A8 1EA2A188
	v_mfma_f32_16x16x32_fp8_fp8 v[168:171], a[138:139], a[82:83], v[168:171]// 000000004148: D3F300A8 1EA2A58A
	v_mfma_f32_16x16x32_fp8_fp8 v[168:171], a[140:141], a[84:85], v[168:171]// 000000004150: D3F300A8 1EA2A98C
	v_mfma_f32_16x16x32_fp8_fp8 v[168:171], a[142:143], a[86:87], v[168:171]// 000000004158: D3F300A8 1EA2AD8E
	v_mfma_f32_16x16x32_fp8_fp8 v[144:147], a[128:129], a[88:89], v[144:147]// 000000004160: D3F30090 1E42B180
	v_mfma_f32_16x16x32_fp8_fp8 v[144:147], a[130:131], a[90:91], v[144:147]// 000000004168: D3F30090 1E42B582
	v_mfma_f32_16x16x32_fp8_fp8 v[144:147], a[132:133], a[92:93], v[144:147]// 000000004170: D3F30090 1E42B984
	v_mfma_f32_16x16x32_fp8_fp8 v[144:147], a[134:135], a[94:95], v[144:147]// 000000004178: D3F30090 1E42BD86
	v_mfma_f32_16x16x32_fp8_fp8 v[172:175], a[136:137], a[88:89], v[172:175]// 000000004180: D3F300AC 1EB2B188
	v_mfma_f32_16x16x32_fp8_fp8 v[172:175], a[138:139], a[90:91], v[172:175]// 000000004188: D3F300AC 1EB2B58A
	v_mfma_f32_16x16x32_fp8_fp8 v[172:175], a[140:141], a[92:93], v[172:175]// 000000004190: D3F300AC 1EB2B98C
	v_mfma_f32_16x16x32_fp8_fp8 v[172:175], a[142:143], a[94:95], v[172:175]// 000000004198: D3F300AC 1EB2BD8E
	v_mfma_f32_16x16x32_fp8_fp8 v[148:151], a[128:129], a[96:97], v[148:151]// 0000000041A0: D3F30094 1E52C180
	v_mfma_f32_16x16x32_fp8_fp8 v[148:151], a[130:131], a[98:99], v[148:151]// 0000000041A8: D3F30094 1E52C582
	v_mfma_f32_16x16x32_fp8_fp8 v[148:151], a[132:133], a[100:101], v[148:151]// 0000000041B0: D3F30094 1E52C984
	v_mfma_f32_16x16x32_fp8_fp8 v[148:151], a[134:135], a[102:103], v[148:151]// 0000000041B8: D3F30094 1E52CD86
	v_mfma_f32_16x16x32_fp8_fp8 v[176:179], a[136:137], a[96:97], v[176:179]// 0000000041C0: D3F300B0 1EC2C188
	v_mfma_f32_16x16x32_fp8_fp8 v[176:179], a[138:139], a[98:99], v[176:179]// 0000000041C8: D3F300B0 1EC2C58A
	v_mfma_f32_16x16x32_fp8_fp8 v[176:179], a[140:141], a[100:101], v[176:179]// 0000000041D0: D3F300B0 1EC2C98C
	v_mfma_f32_16x16x32_fp8_fp8 v[176:179], a[142:143], a[102:103], v[176:179]// 0000000041D8: D3F300B0 1EC2CD8E
	v_mfma_f32_16x16x32_fp8_fp8 v[152:155], a[128:129], a[104:105], v[152:155]// 0000000041E0: D3F30098 1E62D180
	v_mfma_f32_16x16x32_fp8_fp8 v[152:155], a[130:131], a[106:107], v[152:155]// 0000000041E8: D3F30098 1E62D582
	v_mfma_f32_16x16x32_fp8_fp8 v[152:155], a[132:133], a[108:109], v[152:155]// 0000000041F0: D3F30098 1E62D984
	s_add_u32 s60, 0x180, s80                                  // 0000000041F8: 803C50FF 00000180
	s_cmp_lt_u32 s60, s81                                      // 000000004200: BF0A513C
	s_cselect_b32 s57, s57, 0                                  // 000000004204: 85398039
	v_mfma_f32_16x16x32_fp8_fp8 v[152:155], a[134:135], a[110:111], v[152:155]// 000000004208: D3F30098 1E62DD86
	s_add_u32 s60, 0x100, s80                                  // 000000004210: 803C50FF 00000100
	s_cmp_lt_u32 s60, s81                                      // 000000004218: BF0A513C
	s_cselect_b32 s58, s58, 0                                  // 00000000421C: 853A803A
	v_mfma_f32_16x16x32_fp8_fp8 v[180:183], a[136:137], a[104:105], v[180:183]// 000000004220: D3F300B4 1ED2D188
	s_add_u32 s24, s58, s24                                    // 000000004228: 8018183A
	s_addc_u32 s25, 0, s25                                     // 00000000422C: 82191980
	v_mfma_f32_16x16x32_fp8_fp8 v[180:183], a[138:139], a[106:107], v[180:183]// 000000004230: D3F300B4 1ED2D58A
	s_add_u32 s20, s57, s20                                    // 000000004238: 80141439
	s_addc_u32 s21, 0, s21                                     // 00000000423C: 82151580
	v_mfma_f32_16x16x32_fp8_fp8 v[180:183], a[140:141], a[108:109], v[180:183]// 000000004240: D3F300B4 1ED2D98C
	s_add_u32 s84, s83, s84                                    // 000000004248: 80545453
	s_addc_u32 s85, 0, s85                                     // 00000000424C: 82555580
	v_mfma_f32_16x16x32_fp8_fp8 v[180:183], a[142:143], a[110:111], v[180:183]// 000000004250: D3F300B4 1ED2DD8E
	s_addk_i32 s80, 0x80                                       // 000000004258: B7500080
	s_cmp_lt_i32 s80, s81                                      // 00000000425C: BF045150
	s_cbranch_scc0 label_061A                                  // 000000004260: BF840001
	s_branch label_0361                                        // 000000004264: BF82FD47

0000000000004268 <label_061A>:
	v_mul_f32_dpp v72, v24, v72 row_newbcast:0 row_mask:0xf bank_mask:0xf// 000000004268: 0A9090FA FF015018
	v_mul_f32_dpp v73, v24, v73 row_newbcast:1 row_mask:0xf bank_mask:0xf// 000000004270: 0A9292FA FF015118
	v_mul_f32_dpp v74, v24, v74 row_newbcast:2 row_mask:0xf bank_mask:0xf// 000000004278: 0A9494FA FF015218
	v_mul_f32_dpp v75, v24, v75 row_newbcast:3 row_mask:0xf bank_mask:0xf// 000000004280: 0A9696FA FF015318
	v_mul_f32_dpp v76, v24, v76 row_newbcast:0 row_mask:0xf bank_mask:0xf// 000000004288: 0A9898FA FF015018
	v_mul_f32_dpp v77, v24, v77 row_newbcast:1 row_mask:0xf bank_mask:0xf// 000000004290: 0A9A9AFA FF015118
	v_mul_f32_dpp v78, v24, v78 row_newbcast:2 row_mask:0xf bank_mask:0xf// 000000004298: 0A9C9CFA FF015218
	v_mul_f32_dpp v79, v24, v79 row_newbcast:3 row_mask:0xf bank_mask:0xf// 0000000042A0: 0A9E9EFA FF015318
	v_mul_f32_dpp v80, v24, v80 row_newbcast:0 row_mask:0xf bank_mask:0xf// 0000000042A8: 0AA0A0FA FF015018
	v_mul_f32_dpp v81, v24, v81 row_newbcast:1 row_mask:0xf bank_mask:0xf// 0000000042B0: 0AA2A2FA FF015118
	v_mul_f32_dpp v82, v24, v82 row_newbcast:2 row_mask:0xf bank_mask:0xf// 0000000042B8: 0AA4A4FA FF015218
	v_mul_f32_dpp v83, v24, v83 row_newbcast:3 row_mask:0xf bank_mask:0xf// 0000000042C0: 0AA6A6FA FF015318
	v_mul_f32_dpp v84, v24, v84 row_newbcast:0 row_mask:0xf bank_mask:0xf// 0000000042C8: 0AA8A8FA FF015018
	v_mul_f32_dpp v85, v24, v85 row_newbcast:1 row_mask:0xf bank_mask:0xf// 0000000042D0: 0AAAAAFA FF015118
	v_mul_f32_dpp v86, v24, v86 row_newbcast:2 row_mask:0xf bank_mask:0xf// 0000000042D8: 0AACACFA FF015218
	v_mul_f32_dpp v87, v24, v87 row_newbcast:3 row_mask:0xf bank_mask:0xf// 0000000042E0: 0AAEAEFA FF015318
	v_mul_f32_dpp v88, v24, v88 row_newbcast:0 row_mask:0xf bank_mask:0xf// 0000000042E8: 0AB0B0FA FF015018
	v_mul_f32_dpp v89, v24, v89 row_newbcast:1 row_mask:0xf bank_mask:0xf// 0000000042F0: 0AB2B2FA FF015118
	v_mul_f32_dpp v90, v24, v90 row_newbcast:2 row_mask:0xf bank_mask:0xf// 0000000042F8: 0AB4B4FA FF015218
	v_mul_f32_dpp v91, v24, v91 row_newbcast:3 row_mask:0xf bank_mask:0xf// 000000004300: 0AB6B6FA FF015318
	v_mul_f32_dpp v92, v24, v92 row_newbcast:0 row_mask:0xf bank_mask:0xf// 000000004308: 0AB8B8FA FF015018
	v_mul_f32_dpp v93, v24, v93 row_newbcast:1 row_mask:0xf bank_mask:0xf// 000000004310: 0ABABAFA FF015118
	v_mul_f32_dpp v94, v24, v94 row_newbcast:2 row_mask:0xf bank_mask:0xf// 000000004318: 0ABCBCFA FF015218
	v_mul_f32_dpp v95, v24, v95 row_newbcast:3 row_mask:0xf bank_mask:0xf// 000000004320: 0ABEBEFA FF015318
	v_mul_f32_dpp v96, v24, v96 row_newbcast:0 row_mask:0xf bank_mask:0xf// 000000004328: 0AC0C0FA FF015018
	v_mul_f32_dpp v97, v24, v97 row_newbcast:1 row_mask:0xf bank_mask:0xf// 000000004330: 0AC2C2FA FF015118
	v_mul_f32_dpp v98, v24, v98 row_newbcast:2 row_mask:0xf bank_mask:0xf// 000000004338: 0AC4C4FA FF015218
	v_mul_f32_dpp v99, v24, v99 row_newbcast:3 row_mask:0xf bank_mask:0xf// 000000004340: 0AC6C6FA FF015318
	v_mul_f32_dpp v100, v24, v100 row_newbcast:4 row_mask:0xf bank_mask:0xf// 000000004348: 0AC8C8FA FF015418
	v_mul_f32_dpp v101, v24, v101 row_newbcast:5 row_mask:0xf bank_mask:0xf// 000000004350: 0ACACAFA FF015518
	v_mul_f32_dpp v102, v24, v102 row_newbcast:6 row_mask:0xf bank_mask:0xf// 000000004358: 0ACCCCFA FF015618
	v_mul_f32_dpp v103, v24, v103 row_newbcast:7 row_mask:0xf bank_mask:0xf// 000000004360: 0ACECEFA FF015718
	v_mul_f32_dpp v104, v24, v104 row_newbcast:4 row_mask:0xf bank_mask:0xf// 000000004368: 0AD0D0FA FF015418
	v_mul_f32_dpp v105, v24, v105 row_newbcast:5 row_mask:0xf bank_mask:0xf// 000000004370: 0AD2D2FA FF015518
	v_mul_f32_dpp v106, v24, v106 row_newbcast:6 row_mask:0xf bank_mask:0xf// 000000004378: 0AD4D4FA FF015618
	v_mul_f32_dpp v107, v24, v107 row_newbcast:7 row_mask:0xf bank_mask:0xf// 000000004380: 0AD6D6FA FF015718
	v_mul_f32_dpp v108, v24, v108 row_newbcast:4 row_mask:0xf bank_mask:0xf// 000000004388: 0AD8D8FA FF015418
	v_mul_f32_dpp v109, v24, v109 row_newbcast:5 row_mask:0xf bank_mask:0xf// 000000004390: 0ADADAFA FF015518
	v_mul_f32_dpp v110, v24, v110 row_newbcast:6 row_mask:0xf bank_mask:0xf// 000000004398: 0ADCDCFA FF015618
	v_mul_f32_dpp v111, v24, v111 row_newbcast:7 row_mask:0xf bank_mask:0xf// 0000000043A0: 0ADEDEFA FF015718
	v_mul_f32_dpp v112, v24, v112 row_newbcast:4 row_mask:0xf bank_mask:0xf// 0000000043A8: 0AE0E0FA FF015418
	v_mul_f32_dpp v113, v24, v113 row_newbcast:5 row_mask:0xf bank_mask:0xf// 0000000043B0: 0AE2E2FA FF015518
	v_mul_f32_dpp v114, v24, v114 row_newbcast:6 row_mask:0xf bank_mask:0xf// 0000000043B8: 0AE4E4FA FF015618
	v_mul_f32_dpp v115, v24, v115 row_newbcast:7 row_mask:0xf bank_mask:0xf// 0000000043C0: 0AE6E6FA FF015718
	v_mul_f32_dpp v116, v24, v116 row_newbcast:4 row_mask:0xf bank_mask:0xf// 0000000043C8: 0AE8E8FA FF015418
	v_mul_f32_dpp v117, v24, v117 row_newbcast:5 row_mask:0xf bank_mask:0xf// 0000000043D0: 0AEAEAFA FF015518
	v_mul_f32_dpp v118, v24, v118 row_newbcast:6 row_mask:0xf bank_mask:0xf// 0000000043D8: 0AECECFA FF015618
	v_mul_f32_dpp v119, v24, v119 row_newbcast:7 row_mask:0xf bank_mask:0xf// 0000000043E0: 0AEEEEFA FF015718
	v_mul_f32_dpp v120, v24, v120 row_newbcast:4 row_mask:0xf bank_mask:0xf// 0000000043E8: 0AF0F0FA FF015418
	v_mul_f32_dpp v121, v24, v121 row_newbcast:5 row_mask:0xf bank_mask:0xf// 0000000043F0: 0AF2F2FA FF015518
	v_mul_f32_dpp v122, v24, v122 row_newbcast:6 row_mask:0xf bank_mask:0xf// 0000000043F8: 0AF4F4FA FF015618
	v_mul_f32_dpp v123, v24, v123 row_newbcast:7 row_mask:0xf bank_mask:0xf// 000000004400: 0AF6F6FA FF015718
	v_mul_f32_dpp v124, v24, v124 row_newbcast:4 row_mask:0xf bank_mask:0xf// 000000004408: 0AF8F8FA FF015418
	v_mul_f32_dpp v125, v24, v125 row_newbcast:5 row_mask:0xf bank_mask:0xf// 000000004410: 0AFAFAFA FF015518
	v_mul_f32_dpp v126, v24, v126 row_newbcast:6 row_mask:0xf bank_mask:0xf// 000000004418: 0AFCFCFA FF015618
	v_mul_f32_dpp v127, v24, v127 row_newbcast:7 row_mask:0xf bank_mask:0xf// 000000004420: 0AFEFEFA FF015718
	v_mul_f32_dpp v128, v26, v128 row_newbcast:0 row_mask:0xf bank_mask:0xf// 000000004428: 0B0100FA FF01501A
	v_mul_f32_dpp v129, v26, v129 row_newbcast:1 row_mask:0xf bank_mask:0xf// 000000004430: 0B0302FA FF01511A
	v_mul_f32_dpp v130, v26, v130 row_newbcast:2 row_mask:0xf bank_mask:0xf// 000000004438: 0B0504FA FF01521A
	v_mul_f32_dpp v131, v26, v131 row_newbcast:3 row_mask:0xf bank_mask:0xf// 000000004440: 0B0706FA FF01531A
	v_mul_f32_dpp v132, v26, v132 row_newbcast:0 row_mask:0xf bank_mask:0xf// 000000004448: 0B0908FA FF01501A
	v_mul_f32_dpp v133, v26, v133 row_newbcast:1 row_mask:0xf bank_mask:0xf// 000000004450: 0B0B0AFA FF01511A
	v_mul_f32_dpp v134, v26, v134 row_newbcast:2 row_mask:0xf bank_mask:0xf// 000000004458: 0B0D0CFA FF01521A
	v_mul_f32_dpp v135, v26, v135 row_newbcast:3 row_mask:0xf bank_mask:0xf// 000000004460: 0B0F0EFA FF01531A
	v_mul_f32_dpp v136, v26, v136 row_newbcast:0 row_mask:0xf bank_mask:0xf// 000000004468: 0B1110FA FF01501A
	v_mul_f32_dpp v137, v26, v137 row_newbcast:1 row_mask:0xf bank_mask:0xf// 000000004470: 0B1312FA FF01511A
	v_mul_f32_dpp v138, v26, v138 row_newbcast:2 row_mask:0xf bank_mask:0xf// 000000004478: 0B1514FA FF01521A
	v_mul_f32_dpp v139, v26, v139 row_newbcast:3 row_mask:0xf bank_mask:0xf// 000000004480: 0B1716FA FF01531A
	v_mul_f32_dpp v140, v26, v140 row_newbcast:0 row_mask:0xf bank_mask:0xf// 000000004488: 0B1918FA FF01501A
	v_mul_f32_dpp v141, v26, v141 row_newbcast:1 row_mask:0xf bank_mask:0xf// 000000004490: 0B1B1AFA FF01511A
	v_mul_f32_dpp v142, v26, v142 row_newbcast:2 row_mask:0xf bank_mask:0xf// 000000004498: 0B1D1CFA FF01521A
	v_mul_f32_dpp v143, v26, v143 row_newbcast:3 row_mask:0xf bank_mask:0xf// 0000000044A0: 0B1F1EFA FF01531A
	v_mul_f32_dpp v144, v26, v144 row_newbcast:0 row_mask:0xf bank_mask:0xf// 0000000044A8: 0B2120FA FF01501A
	v_mul_f32_dpp v145, v26, v145 row_newbcast:1 row_mask:0xf bank_mask:0xf// 0000000044B0: 0B2322FA FF01511A
	v_mul_f32_dpp v146, v26, v146 row_newbcast:2 row_mask:0xf bank_mask:0xf// 0000000044B8: 0B2524FA FF01521A
	v_mul_f32_dpp v147, v26, v147 row_newbcast:3 row_mask:0xf bank_mask:0xf// 0000000044C0: 0B2726FA FF01531A
	v_mul_f32_dpp v148, v26, v148 row_newbcast:0 row_mask:0xf bank_mask:0xf// 0000000044C8: 0B2928FA FF01501A
	v_mul_f32_dpp v149, v26, v149 row_newbcast:1 row_mask:0xf bank_mask:0xf// 0000000044D0: 0B2B2AFA FF01511A
	v_mul_f32_dpp v150, v26, v150 row_newbcast:2 row_mask:0xf bank_mask:0xf// 0000000044D8: 0B2D2CFA FF01521A
	v_mul_f32_dpp v151, v26, v151 row_newbcast:3 row_mask:0xf bank_mask:0xf// 0000000044E0: 0B2F2EFA FF01531A
	v_mul_f32_dpp v152, v26, v152 row_newbcast:0 row_mask:0xf bank_mask:0xf// 0000000044E8: 0B3130FA FF01501A
	v_mul_f32_dpp v153, v26, v153 row_newbcast:1 row_mask:0xf bank_mask:0xf// 0000000044F0: 0B3332FA FF01511A
	v_mul_f32_dpp v154, v26, v154 row_newbcast:2 row_mask:0xf bank_mask:0xf// 0000000044F8: 0B3534FA FF01521A
	v_mul_f32_dpp v155, v26, v155 row_newbcast:3 row_mask:0xf bank_mask:0xf// 000000004500: 0B3736FA FF01531A
	v_mul_f32_dpp v156, v26, v156 row_newbcast:4 row_mask:0xf bank_mask:0xf// 000000004508: 0B3938FA FF01541A
	v_mul_f32_dpp v157, v26, v157 row_newbcast:5 row_mask:0xf bank_mask:0xf// 000000004510: 0B3B3AFA FF01551A
	v_mul_f32_dpp v158, v26, v158 row_newbcast:6 row_mask:0xf bank_mask:0xf// 000000004518: 0B3D3CFA FF01561A
	v_mul_f32_dpp v159, v26, v159 row_newbcast:7 row_mask:0xf bank_mask:0xf// 000000004520: 0B3F3EFA FF01571A
	v_mul_f32_dpp v160, v26, v160 row_newbcast:4 row_mask:0xf bank_mask:0xf// 000000004528: 0B4140FA FF01541A
	v_mul_f32_dpp v161, v26, v161 row_newbcast:5 row_mask:0xf bank_mask:0xf// 000000004530: 0B4342FA FF01551A
	v_mul_f32_dpp v162, v26, v162 row_newbcast:6 row_mask:0xf bank_mask:0xf// 000000004538: 0B4544FA FF01561A
	v_mul_f32_dpp v163, v26, v163 row_newbcast:7 row_mask:0xf bank_mask:0xf// 000000004540: 0B4746FA FF01571A
	v_mul_f32_dpp v164, v26, v164 row_newbcast:4 row_mask:0xf bank_mask:0xf// 000000004548: 0B4948FA FF01541A
	v_mul_f32_dpp v165, v26, v165 row_newbcast:5 row_mask:0xf bank_mask:0xf// 000000004550: 0B4B4AFA FF01551A
	v_mul_f32_dpp v166, v26, v166 row_newbcast:6 row_mask:0xf bank_mask:0xf// 000000004558: 0B4D4CFA FF01561A
	v_mul_f32_dpp v167, v26, v167 row_newbcast:7 row_mask:0xf bank_mask:0xf// 000000004560: 0B4F4EFA FF01571A
	v_mul_f32_dpp v168, v26, v168 row_newbcast:4 row_mask:0xf bank_mask:0xf// 000000004568: 0B5150FA FF01541A
	v_mul_f32_dpp v169, v26, v169 row_newbcast:5 row_mask:0xf bank_mask:0xf// 000000004570: 0B5352FA FF01551A
	v_mul_f32_dpp v170, v26, v170 row_newbcast:6 row_mask:0xf bank_mask:0xf// 000000004578: 0B5554FA FF01561A
	v_mul_f32_dpp v171, v26, v171 row_newbcast:7 row_mask:0xf bank_mask:0xf// 000000004580: 0B5756FA FF01571A
	v_mul_f32_dpp v172, v26, v172 row_newbcast:4 row_mask:0xf bank_mask:0xf// 000000004588: 0B5958FA FF01541A
	v_mul_f32_dpp v173, v26, v173 row_newbcast:5 row_mask:0xf bank_mask:0xf// 000000004590: 0B5B5AFA FF01551A
	v_mul_f32_dpp v174, v26, v174 row_newbcast:6 row_mask:0xf bank_mask:0xf// 000000004598: 0B5D5CFA FF01561A
	v_mul_f32_dpp v175, v26, v175 row_newbcast:7 row_mask:0xf bank_mask:0xf// 0000000045A0: 0B5F5EFA FF01571A
	v_mul_f32_dpp v176, v26, v176 row_newbcast:4 row_mask:0xf bank_mask:0xf// 0000000045A8: 0B6160FA FF01541A
	v_mul_f32_dpp v177, v26, v177 row_newbcast:5 row_mask:0xf bank_mask:0xf// 0000000045B0: 0B6362FA FF01551A
	v_mul_f32_dpp v178, v26, v178 row_newbcast:6 row_mask:0xf bank_mask:0xf// 0000000045B8: 0B6564FA FF01561A
	v_mul_f32_dpp v179, v26, v179 row_newbcast:7 row_mask:0xf bank_mask:0xf// 0000000045C0: 0B6766FA FF01571A
	v_mul_f32_dpp v180, v26, v180 row_newbcast:4 row_mask:0xf bank_mask:0xf// 0000000045C8: 0B6968FA FF01541A
	v_mul_f32_dpp v181, v26, v181 row_newbcast:5 row_mask:0xf bank_mask:0xf// 0000000045D0: 0B6B6AFA FF01551A
	v_mul_f32_dpp v182, v26, v182 row_newbcast:6 row_mask:0xf bank_mask:0xf// 0000000045D8: 0B6D6CFA FF01561A
	v_mul_f32_dpp v183, v26, v183 row_newbcast:7 row_mask:0xf bank_mask:0xf// 0000000045E0: 0B6F6EFA FF01571A
	v_mul_f32_e32 v35, v35, v184                               // 0000000045E8: 0A477123
	v_mov_b32_e32 v4, v35                                      // 0000000045EC: 7E080323
	v_mov_b32_e32 v5, v4                                       // 0000000045F0: 7E0A0304
	v_pk_mul_f32 v[72:73], v[4:5], v[72:73]                    // 0000000045F4: D3B14048 18029104
	v_pk_mul_f32 v[128:129], v[4:5], v[128:129]                // 0000000045FC: D3B14080 18030104
	v_pk_mul_f32 v[74:75], v[4:5], v[74:75]                    // 000000004604: D3B1404A 18029504
	v_pk_mul_f32 v[130:131], v[4:5], v[130:131]                // 00000000460C: D3B14082 18030504
	v_pk_mul_f32 v[100:101], v[4:5], v[100:101]                // 000000004614: D3B14064 1802C904
	v_pk_mul_f32 v[156:157], v[4:5], v[156:157]                // 00000000461C: D3B1409C 18033904
	v_pk_mul_f32 v[102:103], v[4:5], v[102:103]                // 000000004624: D3B14066 1802CD04
	v_pk_mul_f32 v[158:159], v[4:5], v[158:159]                // 00000000462C: D3B1409E 18033D04
	v_mul_f32_e32 v36, v36, v185                               // 000000004634: 0A497324
	v_mov_b32_e32 v4, v36                                      // 000000004638: 7E080324
	v_mov_b32_e32 v5, v4                                       // 00000000463C: 7E0A0304
	v_pk_mul_f32 v[76:77], v[4:5], v[76:77]                    // 000000004640: D3B1404C 18029904
	v_pk_mul_f32 v[132:133], v[4:5], v[132:133]                // 000000004648: D3B14084 18030904
	v_pk_mul_f32 v[78:79], v[4:5], v[78:79]                    // 000000004650: D3B1404E 18029D04
	v_pk_mul_f32 v[134:135], v[4:5], v[134:135]                // 000000004658: D3B14086 18030D04
	v_pk_mul_f32 v[104:105], v[4:5], v[104:105]                // 000000004660: D3B14068 1802D104
	v_pk_mul_f32 v[160:161], v[4:5], v[160:161]                // 000000004668: D3B140A0 18034104
	v_pk_mul_f32 v[106:107], v[4:5], v[106:107]                // 000000004670: D3B1406A 1802D504
	v_pk_mul_f32 v[162:163], v[4:5], v[162:163]                // 000000004678: D3B140A2 18034504
	v_mul_f32_e32 v37, v37, v186                               // 000000004680: 0A4B7525
	v_mov_b32_e32 v4, v37                                      // 000000004684: 7E080325
	v_mov_b32_e32 v5, v4                                       // 000000004688: 7E0A0304
	v_pk_mul_f32 v[80:81], v[4:5], v[80:81]                    // 00000000468C: D3B14050 1802A104
	v_pk_mul_f32 v[136:137], v[4:5], v[136:137]                // 000000004694: D3B14088 18031104
	v_pk_mul_f32 v[82:83], v[4:5], v[82:83]                    // 00000000469C: D3B14052 1802A504
	v_pk_mul_f32 v[138:139], v[4:5], v[138:139]                // 0000000046A4: D3B1408A 18031504
	v_pk_mul_f32 v[108:109], v[4:5], v[108:109]                // 0000000046AC: D3B1406C 1802D904
	v_pk_mul_f32 v[164:165], v[4:5], v[164:165]                // 0000000046B4: D3B140A4 18034904
	v_pk_mul_f32 v[110:111], v[4:5], v[110:111]                // 0000000046BC: D3B1406E 1802DD04
	v_pk_mul_f32 v[166:167], v[4:5], v[166:167]                // 0000000046C4: D3B140A6 18034D04
	v_mul_f32_e32 v38, v38, v187                               // 0000000046CC: 0A4D7726
	v_mov_b32_e32 v4, v38                                      // 0000000046D0: 7E080326
	v_mov_b32_e32 v5, v4                                       // 0000000046D4: 7E0A0304
	v_pk_mul_f32 v[84:85], v[4:5], v[84:85]                    // 0000000046D8: D3B14054 1802A904
	v_pk_mul_f32 v[140:141], v[4:5], v[140:141]                // 0000000046E0: D3B1408C 18031904
	v_pk_mul_f32 v[86:87], v[4:5], v[86:87]                    // 0000000046E8: D3B14056 1802AD04
	v_pk_mul_f32 v[142:143], v[4:5], v[142:143]                // 0000000046F0: D3B1408E 18031D04
	v_pk_mul_f32 v[112:113], v[4:5], v[112:113]                // 0000000046F8: D3B14070 1802E104
	v_pk_mul_f32 v[168:169], v[4:5], v[168:169]                // 000000004700: D3B140A8 18035104
	v_pk_mul_f32 v[114:115], v[4:5], v[114:115]                // 000000004708: D3B14072 1802E504
	v_pk_mul_f32 v[170:171], v[4:5], v[170:171]                // 000000004710: D3B140AA 18035504
	v_mul_f32_e32 v39, v39, v188                               // 000000004718: 0A4F7927
	v_mov_b32_e32 v4, v39                                      // 00000000471C: 7E080327
	v_mov_b32_e32 v5, v4                                       // 000000004720: 7E0A0304
	v_pk_mul_f32 v[88:89], v[4:5], v[88:89]                    // 000000004724: D3B14058 1802B104
	v_pk_mul_f32 v[144:145], v[4:5], v[144:145]                // 00000000472C: D3B14090 18032104
	v_pk_mul_f32 v[90:91], v[4:5], v[90:91]                    // 000000004734: D3B1405A 1802B504
	v_pk_mul_f32 v[146:147], v[4:5], v[146:147]                // 00000000473C: D3B14092 18032504
	v_pk_mul_f32 v[116:117], v[4:5], v[116:117]                // 000000004744: D3B14074 1802E904
	v_pk_mul_f32 v[172:173], v[4:5], v[172:173]                // 00000000474C: D3B140AC 18035904
	v_pk_mul_f32 v[118:119], v[4:5], v[118:119]                // 000000004754: D3B14076 1802ED04
	v_pk_mul_f32 v[174:175], v[4:5], v[174:175]                // 00000000475C: D3B140AE 18035D04
	v_mul_f32_e32 v40, v40, v189                               // 000000004764: 0A517B28
	v_mov_b32_e32 v4, v40                                      // 000000004768: 7E080328
	v_mov_b32_e32 v5, v4                                       // 00000000476C: 7E0A0304
	v_pk_mul_f32 v[92:93], v[4:5], v[92:93]                    // 000000004770: D3B1405C 1802B904
	v_pk_mul_f32 v[148:149], v[4:5], v[148:149]                // 000000004778: D3B14094 18032904
	v_pk_mul_f32 v[94:95], v[4:5], v[94:95]                    // 000000004780: D3B1405E 1802BD04
	v_pk_mul_f32 v[150:151], v[4:5], v[150:151]                // 000000004788: D3B14096 18032D04
	v_pk_mul_f32 v[120:121], v[4:5], v[120:121]                // 000000004790: D3B14078 1802F104
	v_pk_mul_f32 v[176:177], v[4:5], v[176:177]                // 000000004798: D3B140B0 18036104
	v_pk_mul_f32 v[122:123], v[4:5], v[122:123]                // 0000000047A0: D3B1407A 1802F504
	v_pk_mul_f32 v[178:179], v[4:5], v[178:179]                // 0000000047A8: D3B140B2 18036504
	v_mul_f32_e32 v41, v41, v190                               // 0000000047B0: 0A537D29
	v_mov_b32_e32 v4, v41                                      // 0000000047B4: 7E080329
	v_mov_b32_e32 v5, v4                                       // 0000000047B8: 7E0A0304
	v_pk_mul_f32 v[96:97], v[4:5], v[96:97]                    // 0000000047BC: D3B14060 1802C104
	v_pk_mul_f32 v[152:153], v[4:5], v[152:153]                // 0000000047C4: D3B14098 18033104
	v_pk_mul_f32 v[98:99], v[4:5], v[98:99]                    // 0000000047CC: D3B14062 1802C504
	v_pk_mul_f32 v[154:155], v[4:5], v[154:155]                // 0000000047D4: D3B1409A 18033504
	v_pk_mul_f32 v[124:125], v[4:5], v[124:125]                // 0000000047DC: D3B1407C 1802F904
	v_pk_mul_f32 v[180:181], v[4:5], v[180:181]                // 0000000047E4: D3B140B4 18036904
	v_pk_mul_f32 v[126:127], v[4:5], v[126:127]                // 0000000047EC: D3B1407E 1802FD04
	v_pk_mul_f32 v[182:183], v[4:5], v[182:183]                // 0000000047F4: D3B140B6 18036D04
	s_cmp_eq_u32 s88, 0                                        // 0000000047FC: BF068058
	s_cbranch_scc0 label_0FBA                                  // 000000004800: BF840839
	s_cmp_eq_u32 s89, 0                                        // 000000004804: BF068059
	s_cbranch_scc1 label_09B8                                  // 000000004808: BF850235
	v_mov_b32_e32 v8, v1                                       // 00000000480C: 7E100301
	v_mov_b32_e32 v9, v1                                       // 000000004810: 7E120301
	s_mov_b32 s60, s6                                          // 000000004814: BEBC0006
	s_mov_b32 s61, s6                                          // 000000004818: BEBD0006
	v_pk_mul_f32 v[4:5], v[72:73], v[72:73]                    // 00000000481C: D3B14004 18029148
	v_pk_mul_f32 v[6:7], v[74:75], v[74:75]                    // 000000004824: D3B14006 1802954A
	v_pk_fma_f32 v[4:5], v[4:5], s[78:79], v[8:9]              // 00000000482C: D3B04004 1C209D04
	v_pk_fma_f32 v[6:7], v[6:7], s[78:79], v[8:9]              // 000000004834: D3B04006 1C209D06
	v_pk_mul_f32 v[4:5], v[4:5], v[72:73]                      // 00000000483C: D3B14004 18029104
	v_pk_mul_f32 v[6:7], v[6:7], v[74:75]                      // 000000004844: D3B14006 18029506
	v_pk_mul_f32 v[4:5], v[4:5], s[60:61]                      // 00000000484C: D3B14004 18007904
	v_pk_mul_f32 v[6:7], v[6:7], s[60:61]                      // 000000004854: D3B14006 18007906
	v_exp_f32_e32 v4, v4                                       // 00000000485C: 7E084104
	v_exp_f32_e32 v5, v5                                       // 000000004860: 7E0A4105
	v_exp_f32_e32 v6, v6                                       // 000000004864: 7E0C4106
	v_exp_f32_e32 v7, v7                                       // 000000004868: 7E0E4107
	v_add_f32_e64 v4, v4, 1.0                                  // 00000000486C: D1010004 0001E504
	v_add_f32_e64 v5, v5, 1.0                                  // 000000004874: D1010005 0001E505
	v_add_f32_e64 v6, v6, 1.0                                  // 00000000487C: D1010006 0001E506
	v_add_f32_e64 v7, v7, 1.0                                  // 000000004884: D1010007 0001E507
	v_rcp_f32_e32 v4, v4                                       // 00000000488C: 7E084504
	v_rcp_f32_e32 v5, v5                                       // 000000004890: 7E0A4505
	v_rcp_f32_e32 v6, v6                                       // 000000004894: 7E0C4506
	v_rcp_f32_e32 v7, v7                                       // 000000004898: 7E0E4507
	v_mul_f32_e32 v72, v72, v4                                 // 00000000489C: 0A900948
	v_mul_f32_e32 v73, v73, v5                                 // 0000000048A0: 0A920B49
	v_mul_f32_e32 v74, v74, v6                                 // 0000000048A4: 0A940D4A
	v_mul_f32_e32 v75, v75, v7                                 // 0000000048A8: 0A960F4B
	v_mul_f32_e32 v72, v72, v128                               // 0000000048AC: 0A910148
	v_mul_f32_e32 v73, v73, v129                               // 0000000048B0: 0A930349
	v_mul_f32_e32 v74, v74, v130                               // 0000000048B4: 0A95054A
	v_mul_f32_e32 v75, v75, v131                               // 0000000048B8: 0A97074B
	v_pk_mul_f32 v[4:5], v[76:77], v[76:77]                    // 0000000048BC: D3B14004 1802994C
	v_pk_mul_f32 v[6:7], v[78:79], v[78:79]                    // 0000000048C4: D3B14006 18029D4E
	v_pk_fma_f32 v[4:5], v[4:5], s[78:79], v[8:9]              // 0000000048CC: D3B04004 1C209D04
	v_pk_fma_f32 v[6:7], v[6:7], s[78:79], v[8:9]              // 0000000048D4: D3B04006 1C209D06
	v_pk_mul_f32 v[4:5], v[4:5], v[76:77]                      // 0000000048DC: D3B14004 18029904
	v_pk_mul_f32 v[6:7], v[6:7], v[78:79]                      // 0000000048E4: D3B14006 18029D06
	v_pk_mul_f32 v[4:5], v[4:5], s[60:61]                      // 0000000048EC: D3B14004 18007904
	v_pk_mul_f32 v[6:7], v[6:7], s[60:61]                      // 0000000048F4: D3B14006 18007906
	v_exp_f32_e32 v4, v4                                       // 0000000048FC: 7E084104
	v_exp_f32_e32 v5, v5                                       // 000000004900: 7E0A4105
	v_exp_f32_e32 v6, v6                                       // 000000004904: 7E0C4106
	v_exp_f32_e32 v7, v7                                       // 000000004908: 7E0E4107
	v_add_f32_e64 v4, v4, 1.0                                  // 00000000490C: D1010004 0001E504
	v_add_f32_e64 v5, v5, 1.0                                  // 000000004914: D1010005 0001E505
	v_add_f32_e64 v6, v6, 1.0                                  // 00000000491C: D1010006 0001E506
	v_add_f32_e64 v7, v7, 1.0                                  // 000000004924: D1010007 0001E507
	v_rcp_f32_e32 v4, v4                                       // 00000000492C: 7E084504
	v_rcp_f32_e32 v5, v5                                       // 000000004930: 7E0A4505
	v_rcp_f32_e32 v6, v6                                       // 000000004934: 7E0C4506
	v_rcp_f32_e32 v7, v7                                       // 000000004938: 7E0E4507
	v_mul_f32_e32 v76, v76, v4                                 // 00000000493C: 0A98094C
	v_mul_f32_e32 v77, v77, v5                                 // 000000004940: 0A9A0B4D
	v_mul_f32_e32 v78, v78, v6                                 // 000000004944: 0A9C0D4E
	v_mul_f32_e32 v79, v79, v7                                 // 000000004948: 0A9E0F4F
	v_mul_f32_e32 v76, v76, v132                               // 00000000494C: 0A99094C
	v_mul_f32_e32 v77, v77, v133                               // 000000004950: 0A9B0B4D
	v_mul_f32_e32 v78, v78, v134                               // 000000004954: 0A9D0D4E
	v_mul_f32_e32 v79, v79, v135                               // 000000004958: 0A9F0F4F
	v_pk_mul_f32 v[4:5], v[80:81], v[80:81]                    // 00000000495C: D3B14004 1802A150
	v_pk_mul_f32 v[6:7], v[82:83], v[82:83]                    // 000000004964: D3B14006 1802A552
	v_pk_fma_f32 v[4:5], v[4:5], s[78:79], v[8:9]              // 00000000496C: D3B04004 1C209D04
	v_pk_fma_f32 v[6:7], v[6:7], s[78:79], v[8:9]              // 000000004974: D3B04006 1C209D06
	v_pk_mul_f32 v[4:5], v[4:5], v[80:81]                      // 00000000497C: D3B14004 1802A104
	v_pk_mul_f32 v[6:7], v[6:7], v[82:83]                      // 000000004984: D3B14006 1802A506
	v_pk_mul_f32 v[4:5], v[4:5], s[60:61]                      // 00000000498C: D3B14004 18007904
	v_pk_mul_f32 v[6:7], v[6:7], s[60:61]                      // 000000004994: D3B14006 18007906
	v_exp_f32_e32 v4, v4                                       // 00000000499C: 7E084104
	v_exp_f32_e32 v5, v5                                       // 0000000049A0: 7E0A4105
	v_exp_f32_e32 v6, v6                                       // 0000000049A4: 7E0C4106
	v_exp_f32_e32 v7, v7                                       // 0000000049A8: 7E0E4107
	v_add_f32_e64 v4, v4, 1.0                                  // 0000000049AC: D1010004 0001E504
	v_add_f32_e64 v5, v5, 1.0                                  // 0000000049B4: D1010005 0001E505
	v_add_f32_e64 v6, v6, 1.0                                  // 0000000049BC: D1010006 0001E506
	v_add_f32_e64 v7, v7, 1.0                                  // 0000000049C4: D1010007 0001E507
	v_rcp_f32_e32 v4, v4                                       // 0000000049CC: 7E084504
	v_rcp_f32_e32 v5, v5                                       // 0000000049D0: 7E0A4505
	v_rcp_f32_e32 v6, v6                                       // 0000000049D4: 7E0C4506
	v_rcp_f32_e32 v7, v7                                       // 0000000049D8: 7E0E4507
	v_mul_f32_e32 v80, v80, v4                                 // 0000000049DC: 0AA00950
	v_mul_f32_e32 v81, v81, v5                                 // 0000000049E0: 0AA20B51
	v_mul_f32_e32 v82, v82, v6                                 // 0000000049E4: 0AA40D52
	v_mul_f32_e32 v83, v83, v7                                 // 0000000049E8: 0AA60F53
	v_mul_f32_e32 v80, v80, v136                               // 0000000049EC: 0AA11150
	v_mul_f32_e32 v81, v81, v137                               // 0000000049F0: 0AA31351
	v_mul_f32_e32 v82, v82, v138                               // 0000000049F4: 0AA51552
	v_mul_f32_e32 v83, v83, v139                               // 0000000049F8: 0AA71753
	v_pk_mul_f32 v[4:5], v[84:85], v[84:85]                    // 0000000049FC: D3B14004 1802A954
	v_pk_mul_f32 v[6:7], v[86:87], v[86:87]                    // 000000004A04: D3B14006 1802AD56
	v_pk_fma_f32 v[4:5], v[4:5], s[78:79], v[8:9]              // 000000004A0C: D3B04004 1C209D04
	v_pk_fma_f32 v[6:7], v[6:7], s[78:79], v[8:9]              // 000000004A14: D3B04006 1C209D06
	v_pk_mul_f32 v[4:5], v[4:5], v[84:85]                      // 000000004A1C: D3B14004 1802A904
	v_pk_mul_f32 v[6:7], v[6:7], v[86:87]                      // 000000004A24: D3B14006 1802AD06
	v_pk_mul_f32 v[4:5], v[4:5], s[60:61]                      // 000000004A2C: D3B14004 18007904
	v_pk_mul_f32 v[6:7], v[6:7], s[60:61]                      // 000000004A34: D3B14006 18007906
	v_exp_f32_e32 v4, v4                                       // 000000004A3C: 7E084104
	v_exp_f32_e32 v5, v5                                       // 000000004A40: 7E0A4105
	v_exp_f32_e32 v6, v6                                       // 000000004A44: 7E0C4106
	v_exp_f32_e32 v7, v7                                       // 000000004A48: 7E0E4107
	v_add_f32_e64 v4, v4, 1.0                                  // 000000004A4C: D1010004 0001E504
	v_add_f32_e64 v5, v5, 1.0                                  // 000000004A54: D1010005 0001E505
	v_add_f32_e64 v6, v6, 1.0                                  // 000000004A5C: D1010006 0001E506
	v_add_f32_e64 v7, v7, 1.0                                  // 000000004A64: D1010007 0001E507
	v_rcp_f32_e32 v4, v4                                       // 000000004A6C: 7E084504
	v_rcp_f32_e32 v5, v5                                       // 000000004A70: 7E0A4505
	v_rcp_f32_e32 v6, v6                                       // 000000004A74: 7E0C4506
	v_rcp_f32_e32 v7, v7                                       // 000000004A78: 7E0E4507
	v_mul_f32_e32 v84, v84, v4                                 // 000000004A7C: 0AA80954
	v_mul_f32_e32 v85, v85, v5                                 // 000000004A80: 0AAA0B55
	v_mul_f32_e32 v86, v86, v6                                 // 000000004A84: 0AAC0D56
	v_mul_f32_e32 v87, v87, v7                                 // 000000004A88: 0AAE0F57
	v_mul_f32_e32 v84, v84, v140                               // 000000004A8C: 0AA91954
	v_mul_f32_e32 v85, v85, v141                               // 000000004A90: 0AAB1B55
	v_mul_f32_e32 v86, v86, v142                               // 000000004A94: 0AAD1D56
	v_mul_f32_e32 v87, v87, v143                               // 000000004A98: 0AAF1F57
	v_pk_mul_f32 v[4:5], v[88:89], v[88:89]                    // 000000004A9C: D3B14004 1802B158
	v_pk_mul_f32 v[6:7], v[90:91], v[90:91]                    // 000000004AA4: D3B14006 1802B55A
	v_pk_fma_f32 v[4:5], v[4:5], s[78:79], v[8:9]              // 000000004AAC: D3B04004 1C209D04
	v_pk_fma_f32 v[6:7], v[6:7], s[78:79], v[8:9]              // 000000004AB4: D3B04006 1C209D06
	v_pk_mul_f32 v[4:5], v[4:5], v[88:89]                      // 000000004ABC: D3B14004 1802B104
	v_pk_mul_f32 v[6:7], v[6:7], v[90:91]                      // 000000004AC4: D3B14006 1802B506
	v_pk_mul_f32 v[4:5], v[4:5], s[60:61]                      // 000000004ACC: D3B14004 18007904
	v_pk_mul_f32 v[6:7], v[6:7], s[60:61]                      // 000000004AD4: D3B14006 18007906
	v_exp_f32_e32 v4, v4                                       // 000000004ADC: 7E084104
	v_exp_f32_e32 v5, v5                                       // 000000004AE0: 7E0A4105
	v_exp_f32_e32 v6, v6                                       // 000000004AE4: 7E0C4106
	v_exp_f32_e32 v7, v7                                       // 000000004AE8: 7E0E4107
	v_add_f32_e64 v4, v4, 1.0                                  // 000000004AEC: D1010004 0001E504
	v_add_f32_e64 v5, v5, 1.0                                  // 000000004AF4: D1010005 0001E505
	v_add_f32_e64 v6, v6, 1.0                                  // 000000004AFC: D1010006 0001E506
	v_add_f32_e64 v7, v7, 1.0                                  // 000000004B04: D1010007 0001E507
	v_rcp_f32_e32 v4, v4                                       // 000000004B0C: 7E084504
	v_rcp_f32_e32 v5, v5                                       // 000000004B10: 7E0A4505
	v_rcp_f32_e32 v6, v6                                       // 000000004B14: 7E0C4506
	v_rcp_f32_e32 v7, v7                                       // 000000004B18: 7E0E4507
	v_mul_f32_e32 v88, v88, v4                                 // 000000004B1C: 0AB00958
	v_mul_f32_e32 v89, v89, v5                                 // 000000004B20: 0AB20B59
	v_mul_f32_e32 v90, v90, v6                                 // 000000004B24: 0AB40D5A
	v_mul_f32_e32 v91, v91, v7                                 // 000000004B28: 0AB60F5B
	v_mul_f32_e32 v88, v88, v144                               // 000000004B2C: 0AB12158
	v_mul_f32_e32 v89, v89, v145                               // 000000004B30: 0AB32359
	v_mul_f32_e32 v90, v90, v146                               // 000000004B34: 0AB5255A
	v_mul_f32_e32 v91, v91, v147                               // 000000004B38: 0AB7275B
	v_pk_mul_f32 v[4:5], v[92:93], v[92:93]                    // 000000004B3C: D3B14004 1802B95C
	v_pk_mul_f32 v[6:7], v[94:95], v[94:95]                    // 000000004B44: D3B14006 1802BD5E
	v_pk_fma_f32 v[4:5], v[4:5], s[78:79], v[8:9]              // 000000004B4C: D3B04004 1C209D04
	v_pk_fma_f32 v[6:7], v[6:7], s[78:79], v[8:9]              // 000000004B54: D3B04006 1C209D06
	v_pk_mul_f32 v[4:5], v[4:5], v[92:93]                      // 000000004B5C: D3B14004 1802B904
	v_pk_mul_f32 v[6:7], v[6:7], v[94:95]                      // 000000004B64: D3B14006 1802BD06
	v_pk_mul_f32 v[4:5], v[4:5], s[60:61]                      // 000000004B6C: D3B14004 18007904
	v_pk_mul_f32 v[6:7], v[6:7], s[60:61]                      // 000000004B74: D3B14006 18007906
	v_exp_f32_e32 v4, v4                                       // 000000004B7C: 7E084104
	v_exp_f32_e32 v5, v5                                       // 000000004B80: 7E0A4105
	v_exp_f32_e32 v6, v6                                       // 000000004B84: 7E0C4106
	v_exp_f32_e32 v7, v7                                       // 000000004B88: 7E0E4107
	v_add_f32_e64 v4, v4, 1.0                                  // 000000004B8C: D1010004 0001E504
	v_add_f32_e64 v5, v5, 1.0                                  // 000000004B94: D1010005 0001E505
	v_add_f32_e64 v6, v6, 1.0                                  // 000000004B9C: D1010006 0001E506
	v_add_f32_e64 v7, v7, 1.0                                  // 000000004BA4: D1010007 0001E507
	v_rcp_f32_e32 v4, v4                                       // 000000004BAC: 7E084504
	v_rcp_f32_e32 v5, v5                                       // 000000004BB0: 7E0A4505
	v_rcp_f32_e32 v6, v6                                       // 000000004BB4: 7E0C4506
	v_rcp_f32_e32 v7, v7                                       // 000000004BB8: 7E0E4507
	v_mul_f32_e32 v92, v92, v4                                 // 000000004BBC: 0AB8095C
	v_mul_f32_e32 v93, v93, v5                                 // 000000004BC0: 0ABA0B5D
	v_mul_f32_e32 v94, v94, v6                                 // 000000004BC4: 0ABC0D5E
	v_mul_f32_e32 v95, v95, v7                                 // 000000004BC8: 0ABE0F5F
	v_mul_f32_e32 v92, v92, v148                               // 000000004BCC: 0AB9295C
	v_mul_f32_e32 v93, v93, v149                               // 000000004BD0: 0ABB2B5D
	v_mul_f32_e32 v94, v94, v150                               // 000000004BD4: 0ABD2D5E
	v_mul_f32_e32 v95, v95, v151                               // 000000004BD8: 0ABF2F5F
	v_pk_mul_f32 v[4:5], v[96:97], v[96:97]                    // 000000004BDC: D3B14004 1802C160
	v_pk_mul_f32 v[6:7], v[98:99], v[98:99]                    // 000000004BE4: D3B14006 1802C562
	v_pk_fma_f32 v[4:5], v[4:5], s[78:79], v[8:9]              // 000000004BEC: D3B04004 1C209D04
	v_pk_fma_f32 v[6:7], v[6:7], s[78:79], v[8:9]              // 000000004BF4: D3B04006 1C209D06
	v_pk_mul_f32 v[4:5], v[4:5], v[96:97]                      // 000000004BFC: D3B14004 1802C104
	v_pk_mul_f32 v[6:7], v[6:7], v[98:99]                      // 000000004C04: D3B14006 1802C506
	v_pk_mul_f32 v[4:5], v[4:5], s[60:61]                      // 000000004C0C: D3B14004 18007904
	v_pk_mul_f32 v[6:7], v[6:7], s[60:61]                      // 000000004C14: D3B14006 18007906
	v_exp_f32_e32 v4, v4                                       // 000000004C1C: 7E084104
	v_exp_f32_e32 v5, v5                                       // 000000004C20: 7E0A4105
	v_exp_f32_e32 v6, v6                                       // 000000004C24: 7E0C4106
	v_exp_f32_e32 v7, v7                                       // 000000004C28: 7E0E4107
	v_add_f32_e64 v4, v4, 1.0                                  // 000000004C2C: D1010004 0001E504
	v_add_f32_e64 v5, v5, 1.0                                  // 000000004C34: D1010005 0001E505
	v_add_f32_e64 v6, v6, 1.0                                  // 000000004C3C: D1010006 0001E506
	v_add_f32_e64 v7, v7, 1.0                                  // 000000004C44: D1010007 0001E507
	v_rcp_f32_e32 v4, v4                                       // 000000004C4C: 7E084504
	v_rcp_f32_e32 v5, v5                                       // 000000004C50: 7E0A4505
	v_rcp_f32_e32 v6, v6                                       // 000000004C54: 7E0C4506
	v_rcp_f32_e32 v7, v7                                       // 000000004C58: 7E0E4507
	v_mul_f32_e32 v96, v96, v4                                 // 000000004C5C: 0AC00960
	v_mul_f32_e32 v97, v97, v5                                 // 000000004C60: 0AC20B61
	v_mul_f32_e32 v98, v98, v6                                 // 000000004C64: 0AC40D62
	v_mul_f32_e32 v99, v99, v7                                 // 000000004C68: 0AC60F63
	v_mul_f32_e32 v96, v96, v152                               // 000000004C6C: 0AC13160
	v_mul_f32_e32 v97, v97, v153                               // 000000004C70: 0AC33361
	v_mul_f32_e32 v98, v98, v154                               // 000000004C74: 0AC53562
	v_mul_f32_e32 v99, v99, v155                               // 000000004C78: 0AC73763
	v_pk_mul_f32 v[4:5], v[100:101], v[100:101]                // 000000004C7C: D3B14004 1802C964
	v_pk_mul_f32 v[6:7], v[102:103], v[102:103]                // 000000004C84: D3B14006 1802CD66
	v_pk_fma_f32 v[4:5], v[4:5], s[78:79], v[8:9]              // 000000004C8C: D3B04004 1C209D04
	v_pk_fma_f32 v[6:7], v[6:7], s[78:79], v[8:9]              // 000000004C94: D3B04006 1C209D06
	v_pk_mul_f32 v[4:5], v[4:5], v[100:101]                    // 000000004C9C: D3B14004 1802C904
	v_pk_mul_f32 v[6:7], v[6:7], v[102:103]                    // 000000004CA4: D3B14006 1802CD06
	v_pk_mul_f32 v[4:5], v[4:5], s[60:61]                      // 000000004CAC: D3B14004 18007904
	v_pk_mul_f32 v[6:7], v[6:7], s[60:61]                      // 000000004CB4: D3B14006 18007906
	v_exp_f32_e32 v4, v4                                       // 000000004CBC: 7E084104
	v_exp_f32_e32 v5, v5                                       // 000000004CC0: 7E0A4105
	v_exp_f32_e32 v6, v6                                       // 000000004CC4: 7E0C4106
	v_exp_f32_e32 v7, v7                                       // 000000004CC8: 7E0E4107
	v_add_f32_e64 v4, v4, 1.0                                  // 000000004CCC: D1010004 0001E504
	v_add_f32_e64 v5, v5, 1.0                                  // 000000004CD4: D1010005 0001E505
	v_add_f32_e64 v6, v6, 1.0                                  // 000000004CDC: D1010006 0001E506
	v_add_f32_e64 v7, v7, 1.0                                  // 000000004CE4: D1010007 0001E507
	v_rcp_f32_e32 v4, v4                                       // 000000004CEC: 7E084504
	v_rcp_f32_e32 v5, v5                                       // 000000004CF0: 7E0A4505
	v_rcp_f32_e32 v6, v6                                       // 000000004CF4: 7E0C4506
	v_rcp_f32_e32 v7, v7                                       // 000000004CF8: 7E0E4507
	v_mul_f32_e32 v100, v100, v4                               // 000000004CFC: 0AC80964
	v_mul_f32_e32 v101, v101, v5                               // 000000004D00: 0ACA0B65
	v_mul_f32_e32 v102, v102, v6                               // 000000004D04: 0ACC0D66
	v_mul_f32_e32 v103, v103, v7                               // 000000004D08: 0ACE0F67
	v_mul_f32_e32 v100, v100, v156                             // 000000004D0C: 0AC93964
	v_mul_f32_e32 v101, v101, v157                             // 000000004D10: 0ACB3B65
	v_mul_f32_e32 v102, v102, v158                             // 000000004D14: 0ACD3D66
	v_mul_f32_e32 v103, v103, v159                             // 000000004D18: 0ACF3F67
	v_pk_mul_f32 v[4:5], v[104:105], v[104:105]                // 000000004D1C: D3B14004 1802D168
	v_pk_mul_f32 v[6:7], v[106:107], v[106:107]                // 000000004D24: D3B14006 1802D56A
	v_pk_fma_f32 v[4:5], v[4:5], s[78:79], v[8:9]              // 000000004D2C: D3B04004 1C209D04
	v_pk_fma_f32 v[6:7], v[6:7], s[78:79], v[8:9]              // 000000004D34: D3B04006 1C209D06
	v_pk_mul_f32 v[4:5], v[4:5], v[104:105]                    // 000000004D3C: D3B14004 1802D104
	v_pk_mul_f32 v[6:7], v[6:7], v[106:107]                    // 000000004D44: D3B14006 1802D506
	v_pk_mul_f32 v[4:5], v[4:5], s[60:61]                      // 000000004D4C: D3B14004 18007904
	v_pk_mul_f32 v[6:7], v[6:7], s[60:61]                      // 000000004D54: D3B14006 18007906
	v_exp_f32_e32 v4, v4                                       // 000000004D5C: 7E084104
	v_exp_f32_e32 v5, v5                                       // 000000004D60: 7E0A4105
	v_exp_f32_e32 v6, v6                                       // 000000004D64: 7E0C4106
	v_exp_f32_e32 v7, v7                                       // 000000004D68: 7E0E4107
	v_add_f32_e64 v4, v4, 1.0                                  // 000000004D6C: D1010004 0001E504
	v_add_f32_e64 v5, v5, 1.0                                  // 000000004D74: D1010005 0001E505
	v_add_f32_e64 v6, v6, 1.0                                  // 000000004D7C: D1010006 0001E506
	v_add_f32_e64 v7, v7, 1.0                                  // 000000004D84: D1010007 0001E507
	v_rcp_f32_e32 v4, v4                                       // 000000004D8C: 7E084504
	v_rcp_f32_e32 v5, v5                                       // 000000004D90: 7E0A4505
	v_rcp_f32_e32 v6, v6                                       // 000000004D94: 7E0C4506
	v_rcp_f32_e32 v7, v7                                       // 000000004D98: 7E0E4507
	v_mul_f32_e32 v104, v104, v4                               // 000000004D9C: 0AD00968
	v_mul_f32_e32 v105, v105, v5                               // 000000004DA0: 0AD20B69
	v_mul_f32_e32 v106, v106, v6                               // 000000004DA4: 0AD40D6A
	v_mul_f32_e32 v107, v107, v7                               // 000000004DA8: 0AD60F6B
	v_mul_f32_e32 v104, v104, v160                             // 000000004DAC: 0AD14168
	v_mul_f32_e32 v105, v105, v161                             // 000000004DB0: 0AD34369
	v_mul_f32_e32 v106, v106, v162                             // 000000004DB4: 0AD5456A
	v_mul_f32_e32 v107, v107, v163                             // 000000004DB8: 0AD7476B
	v_pk_mul_f32 v[4:5], v[108:109], v[108:109]                // 000000004DBC: D3B14004 1802D96C
	v_pk_mul_f32 v[6:7], v[110:111], v[110:111]                // 000000004DC4: D3B14006 1802DD6E
	v_pk_fma_f32 v[4:5], v[4:5], s[78:79], v[8:9]              // 000000004DCC: D3B04004 1C209D04
	v_pk_fma_f32 v[6:7], v[6:7], s[78:79], v[8:9]              // 000000004DD4: D3B04006 1C209D06
	v_pk_mul_f32 v[4:5], v[4:5], v[108:109]                    // 000000004DDC: D3B14004 1802D904
	v_pk_mul_f32 v[6:7], v[6:7], v[110:111]                    // 000000004DE4: D3B14006 1802DD06
	v_pk_mul_f32 v[4:5], v[4:5], s[60:61]                      // 000000004DEC: D3B14004 18007904
	v_pk_mul_f32 v[6:7], v[6:7], s[60:61]                      // 000000004DF4: D3B14006 18007906
	v_exp_f32_e32 v4, v4                                       // 000000004DFC: 7E084104
	v_exp_f32_e32 v5, v5                                       // 000000004E00: 7E0A4105
	v_exp_f32_e32 v6, v6                                       // 000000004E04: 7E0C4106
	v_exp_f32_e32 v7, v7                                       // 000000004E08: 7E0E4107
	v_add_f32_e64 v4, v4, 1.0                                  // 000000004E0C: D1010004 0001E504
	v_add_f32_e64 v5, v5, 1.0                                  // 000000004E14: D1010005 0001E505
	v_add_f32_e64 v6, v6, 1.0                                  // 000000004E1C: D1010006 0001E506
	v_add_f32_e64 v7, v7, 1.0                                  // 000000004E24: D1010007 0001E507
	v_rcp_f32_e32 v4, v4                                       // 000000004E2C: 7E084504
	v_rcp_f32_e32 v5, v5                                       // 000000004E30: 7E0A4505
	v_rcp_f32_e32 v6, v6                                       // 000000004E34: 7E0C4506
	v_rcp_f32_e32 v7, v7                                       // 000000004E38: 7E0E4507
	v_mul_f32_e32 v108, v108, v4                               // 000000004E3C: 0AD8096C
	v_mul_f32_e32 v109, v109, v5                               // 000000004E40: 0ADA0B6D
	v_mul_f32_e32 v110, v110, v6                               // 000000004E44: 0ADC0D6E
	v_mul_f32_e32 v111, v111, v7                               // 000000004E48: 0ADE0F6F
	v_mul_f32_e32 v108, v108, v164                             // 000000004E4C: 0AD9496C
	v_mul_f32_e32 v109, v109, v165                             // 000000004E50: 0ADB4B6D
	v_mul_f32_e32 v110, v110, v166                             // 000000004E54: 0ADD4D6E
	v_mul_f32_e32 v111, v111, v167                             // 000000004E58: 0ADF4F6F
	v_pk_mul_f32 v[4:5], v[112:113], v[112:113]                // 000000004E5C: D3B14004 1802E170
	v_pk_mul_f32 v[6:7], v[114:115], v[114:115]                // 000000004E64: D3B14006 1802E572
	v_pk_fma_f32 v[4:5], v[4:5], s[78:79], v[8:9]              // 000000004E6C: D3B04004 1C209D04
	v_pk_fma_f32 v[6:7], v[6:7], s[78:79], v[8:9]              // 000000004E74: D3B04006 1C209D06
	v_pk_mul_f32 v[4:5], v[4:5], v[112:113]                    // 000000004E7C: D3B14004 1802E104
	v_pk_mul_f32 v[6:7], v[6:7], v[114:115]                    // 000000004E84: D3B14006 1802E506
	v_pk_mul_f32 v[4:5], v[4:5], s[60:61]                      // 000000004E8C: D3B14004 18007904
	v_pk_mul_f32 v[6:7], v[6:7], s[60:61]                      // 000000004E94: D3B14006 18007906
	v_exp_f32_e32 v4, v4                                       // 000000004E9C: 7E084104
	v_exp_f32_e32 v5, v5                                       // 000000004EA0: 7E0A4105
	v_exp_f32_e32 v6, v6                                       // 000000004EA4: 7E0C4106
	v_exp_f32_e32 v7, v7                                       // 000000004EA8: 7E0E4107
	v_add_f32_e64 v4, v4, 1.0                                  // 000000004EAC: D1010004 0001E504
	v_add_f32_e64 v5, v5, 1.0                                  // 000000004EB4: D1010005 0001E505
	v_add_f32_e64 v6, v6, 1.0                                  // 000000004EBC: D1010006 0001E506
	v_add_f32_e64 v7, v7, 1.0                                  // 000000004EC4: D1010007 0001E507
	v_rcp_f32_e32 v4, v4                                       // 000000004ECC: 7E084504
	v_rcp_f32_e32 v5, v5                                       // 000000004ED0: 7E0A4505
	v_rcp_f32_e32 v6, v6                                       // 000000004ED4: 7E0C4506
	v_rcp_f32_e32 v7, v7                                       // 000000004ED8: 7E0E4507
	v_mul_f32_e32 v112, v112, v4                               // 000000004EDC: 0AE00970
	v_mul_f32_e32 v113, v113, v5                               // 000000004EE0: 0AE20B71
	v_mul_f32_e32 v114, v114, v6                               // 000000004EE4: 0AE40D72
	v_mul_f32_e32 v115, v115, v7                               // 000000004EE8: 0AE60F73
	v_mul_f32_e32 v112, v112, v168                             // 000000004EEC: 0AE15170
	v_mul_f32_e32 v113, v113, v169                             // 000000004EF0: 0AE35371
	v_mul_f32_e32 v114, v114, v170                             // 000000004EF4: 0AE55572
	v_mul_f32_e32 v115, v115, v171                             // 000000004EF8: 0AE75773
	v_pk_mul_f32 v[4:5], v[116:117], v[116:117]                // 000000004EFC: D3B14004 1802E974
	v_pk_mul_f32 v[6:7], v[118:119], v[118:119]                // 000000004F04: D3B14006 1802ED76
	v_pk_fma_f32 v[4:5], v[4:5], s[78:79], v[8:9]              // 000000004F0C: D3B04004 1C209D04
	v_pk_fma_f32 v[6:7], v[6:7], s[78:79], v[8:9]              // 000000004F14: D3B04006 1C209D06
	v_pk_mul_f32 v[4:5], v[4:5], v[116:117]                    // 000000004F1C: D3B14004 1802E904
	v_pk_mul_f32 v[6:7], v[6:7], v[118:119]                    // 000000004F24: D3B14006 1802ED06
	v_pk_mul_f32 v[4:5], v[4:5], s[60:61]                      // 000000004F2C: D3B14004 18007904
	v_pk_mul_f32 v[6:7], v[6:7], s[60:61]                      // 000000004F34: D3B14006 18007906
	v_exp_f32_e32 v4, v4                                       // 000000004F3C: 7E084104
	v_exp_f32_e32 v5, v5                                       // 000000004F40: 7E0A4105
	v_exp_f32_e32 v6, v6                                       // 000000004F44: 7E0C4106
	v_exp_f32_e32 v7, v7                                       // 000000004F48: 7E0E4107
	v_add_f32_e64 v4, v4, 1.0                                  // 000000004F4C: D1010004 0001E504
	v_add_f32_e64 v5, v5, 1.0                                  // 000000004F54: D1010005 0001E505
	v_add_f32_e64 v6, v6, 1.0                                  // 000000004F5C: D1010006 0001E506
	v_add_f32_e64 v7, v7, 1.0                                  // 000000004F64: D1010007 0001E507
	v_rcp_f32_e32 v4, v4                                       // 000000004F6C: 7E084504
	v_rcp_f32_e32 v5, v5                                       // 000000004F70: 7E0A4505
	v_rcp_f32_e32 v6, v6                                       // 000000004F74: 7E0C4506
	v_rcp_f32_e32 v7, v7                                       // 000000004F78: 7E0E4507
	v_mul_f32_e32 v116, v116, v4                               // 000000004F7C: 0AE80974
	v_mul_f32_e32 v117, v117, v5                               // 000000004F80: 0AEA0B75
	v_mul_f32_e32 v118, v118, v6                               // 000000004F84: 0AEC0D76
	v_mul_f32_e32 v119, v119, v7                               // 000000004F88: 0AEE0F77
	v_mul_f32_e32 v116, v116, v172                             // 000000004F8C: 0AE95974
	v_mul_f32_e32 v117, v117, v173                             // 000000004F90: 0AEB5B75
	v_mul_f32_e32 v118, v118, v174                             // 000000004F94: 0AED5D76
	v_mul_f32_e32 v119, v119, v175                             // 000000004F98: 0AEF5F77
	v_pk_mul_f32 v[4:5], v[120:121], v[120:121]                // 000000004F9C: D3B14004 1802F178
	v_pk_mul_f32 v[6:7], v[122:123], v[122:123]                // 000000004FA4: D3B14006 1802F57A
	v_pk_fma_f32 v[4:5], v[4:5], s[78:79], v[8:9]              // 000000004FAC: D3B04004 1C209D04
	v_pk_fma_f32 v[6:7], v[6:7], s[78:79], v[8:9]              // 000000004FB4: D3B04006 1C209D06
	v_pk_mul_f32 v[4:5], v[4:5], v[120:121]                    // 000000004FBC: D3B14004 1802F104
	v_pk_mul_f32 v[6:7], v[6:7], v[122:123]                    // 000000004FC4: D3B14006 1802F506
	v_pk_mul_f32 v[4:5], v[4:5], s[60:61]                      // 000000004FCC: D3B14004 18007904
	v_pk_mul_f32 v[6:7], v[6:7], s[60:61]                      // 000000004FD4: D3B14006 18007906
	v_exp_f32_e32 v4, v4                                       // 000000004FDC: 7E084104
	v_exp_f32_e32 v5, v5                                       // 000000004FE0: 7E0A4105
	v_exp_f32_e32 v6, v6                                       // 000000004FE4: 7E0C4106
	v_exp_f32_e32 v7, v7                                       // 000000004FE8: 7E0E4107
	v_add_f32_e64 v4, v4, 1.0                                  // 000000004FEC: D1010004 0001E504
	v_add_f32_e64 v5, v5, 1.0                                  // 000000004FF4: D1010005 0001E505
	v_add_f32_e64 v6, v6, 1.0                                  // 000000004FFC: D1010006 0001E506
	v_add_f32_e64 v7, v7, 1.0                                  // 000000005004: D1010007 0001E507
	v_rcp_f32_e32 v4, v4                                       // 00000000500C: 7E084504
	v_rcp_f32_e32 v5, v5                                       // 000000005010: 7E0A4505
	v_rcp_f32_e32 v6, v6                                       // 000000005014: 7E0C4506
	v_rcp_f32_e32 v7, v7                                       // 000000005018: 7E0E4507
	v_mul_f32_e32 v120, v120, v4                               // 00000000501C: 0AF00978
	v_mul_f32_e32 v121, v121, v5                               // 000000005020: 0AF20B79
	v_mul_f32_e32 v122, v122, v6                               // 000000005024: 0AF40D7A
	v_mul_f32_e32 v123, v123, v7                               // 000000005028: 0AF60F7B
	v_mul_f32_e32 v120, v120, v176                             // 00000000502C: 0AF16178
	v_mul_f32_e32 v121, v121, v177                             // 000000005030: 0AF36379
	v_mul_f32_e32 v122, v122, v178                             // 000000005034: 0AF5657A
	v_mul_f32_e32 v123, v123, v179                             // 000000005038: 0AF7677B
	v_pk_mul_f32 v[4:5], v[124:125], v[124:125]                // 00000000503C: D3B14004 1802F97C
	v_pk_mul_f32 v[6:7], v[126:127], v[126:127]                // 000000005044: D3B14006 1802FD7E
	v_pk_fma_f32 v[4:5], v[4:5], s[78:79], v[8:9]              // 00000000504C: D3B04004 1C209D04
	v_pk_fma_f32 v[6:7], v[6:7], s[78:79], v[8:9]              // 000000005054: D3B04006 1C209D06
	v_pk_mul_f32 v[4:5], v[4:5], v[124:125]                    // 00000000505C: D3B14004 1802F904
	v_pk_mul_f32 v[6:7], v[6:7], v[126:127]                    // 000000005064: D3B14006 1802FD06
	v_pk_mul_f32 v[4:5], v[4:5], s[60:61]                      // 00000000506C: D3B14004 18007904
	v_pk_mul_f32 v[6:7], v[6:7], s[60:61]                      // 000000005074: D3B14006 18007906
	v_exp_f32_e32 v4, v4                                       // 00000000507C: 7E084104
	v_exp_f32_e32 v5, v5                                       // 000000005080: 7E0A4105
	v_exp_f32_e32 v6, v6                                       // 000000005084: 7E0C4106
	v_exp_f32_e32 v7, v7                                       // 000000005088: 7E0E4107
	v_add_f32_e64 v4, v4, 1.0                                  // 00000000508C: D1010004 0001E504
	v_add_f32_e64 v5, v5, 1.0                                  // 000000005094: D1010005 0001E505
	v_add_f32_e64 v6, v6, 1.0                                  // 00000000509C: D1010006 0001E506
	v_add_f32_e64 v7, v7, 1.0                                  // 0000000050A4: D1010007 0001E507
	v_rcp_f32_e32 v4, v4                                       // 0000000050AC: 7E084504
	v_rcp_f32_e32 v5, v5                                       // 0000000050B0: 7E0A4505
	v_rcp_f32_e32 v6, v6                                       // 0000000050B4: 7E0C4506
	v_rcp_f32_e32 v7, v7                                       // 0000000050B8: 7E0E4507
	v_mul_f32_e32 v124, v124, v4                               // 0000000050BC: 0AF8097C
	v_mul_f32_e32 v125, v125, v5                               // 0000000050C0: 0AFA0B7D
	v_mul_f32_e32 v126, v126, v6                               // 0000000050C4: 0AFC0D7E
	v_mul_f32_e32 v127, v127, v7                               // 0000000050C8: 0AFE0F7F
	v_mul_f32_e32 v124, v124, v180                             // 0000000050CC: 0AF9697C
	v_mul_f32_e32 v125, v125, v181                             // 0000000050D0: 0AFB6B7D
	v_mul_f32_e32 v126, v126, v182                             // 0000000050D4: 0AFD6D7E
	v_mul_f32_e32 v127, v127, v183                             // 0000000050D8: 0AFF6F7F
	s_branch label_0B78                                        // 0000000050DC: BF8201C0

00000000000050e0 <label_09B8>:
	v_mul_f32_e64 v4, -v72, s6                                 // 0000000050E0: D1050004 20000D48
	v_mul_f32_e64 v5, -v73, s6                                 // 0000000050E8: D1050005 20000D49
	v_mul_f32_e64 v6, -v74, s6                                 // 0000000050F0: D1050006 20000D4A
	v_mul_f32_e64 v7, -v75, s6                                 // 0000000050F8: D1050007 20000D4B
	v_exp_f32_e32 v4, v4                                       // 000000005100: 7E084104
	v_exp_f32_e32 v5, v5                                       // 000000005104: 7E0A4105
	v_exp_f32_e32 v6, v6                                       // 000000005108: 7E0C4106
	v_exp_f32_e32 v7, v7                                       // 00000000510C: 7E0E4107
	v_add_f32_e64 v4, v4, 1.0                                  // 000000005110: D1010004 0001E504
	v_add_f32_e64 v5, v5, 1.0                                  // 000000005118: D1010005 0001E505
	v_add_f32_e64 v6, v6, 1.0                                  // 000000005120: D1010006 0001E506
	v_add_f32_e64 v7, v7, 1.0                                  // 000000005128: D1010007 0001E507
	v_rcp_f32_e32 v4, v4                                       // 000000005130: 7E084504
	v_rcp_f32_e32 v5, v5                                       // 000000005134: 7E0A4505
	v_rcp_f32_e32 v6, v6                                       // 000000005138: 7E0C4506
	v_rcp_f32_e32 v7, v7                                       // 00000000513C: 7E0E4507
	v_mul_f32_e32 v72, v72, v4                                 // 000000005140: 0A900948
	v_mul_f32_e32 v73, v73, v5                                 // 000000005144: 0A920B49
	v_mul_f32_e32 v74, v74, v6                                 // 000000005148: 0A940D4A
	v_mul_f32_e32 v75, v75, v7                                 // 00000000514C: 0A960F4B
	v_mul_f32_e32 v72, v72, v128                               // 000000005150: 0A910148
	v_mul_f32_e32 v73, v73, v129                               // 000000005154: 0A930349
	v_mul_f32_e32 v74, v74, v130                               // 000000005158: 0A95054A
	v_mul_f32_e32 v75, v75, v131                               // 00000000515C: 0A97074B
	v_mul_f32_e64 v4, -v76, s6                                 // 000000005160: D1050004 20000D4C
	v_mul_f32_e64 v5, -v77, s6                                 // 000000005168: D1050005 20000D4D
	v_mul_f32_e64 v6, -v78, s6                                 // 000000005170: D1050006 20000D4E
	v_mul_f32_e64 v7, -v79, s6                                 // 000000005178: D1050007 20000D4F
	v_exp_f32_e32 v4, v4                                       // 000000005180: 7E084104
	v_exp_f32_e32 v5, v5                                       // 000000005184: 7E0A4105
	v_exp_f32_e32 v6, v6                                       // 000000005188: 7E0C4106
	v_exp_f32_e32 v7, v7                                       // 00000000518C: 7E0E4107
	v_add_f32_e64 v4, v4, 1.0                                  // 000000005190: D1010004 0001E504
	v_add_f32_e64 v5, v5, 1.0                                  // 000000005198: D1010005 0001E505
	v_add_f32_e64 v6, v6, 1.0                                  // 0000000051A0: D1010006 0001E506
	v_add_f32_e64 v7, v7, 1.0                                  // 0000000051A8: D1010007 0001E507
	v_rcp_f32_e32 v4, v4                                       // 0000000051B0: 7E084504
	v_rcp_f32_e32 v5, v5                                       // 0000000051B4: 7E0A4505
	v_rcp_f32_e32 v6, v6                                       // 0000000051B8: 7E0C4506
	v_rcp_f32_e32 v7, v7                                       // 0000000051BC: 7E0E4507
	v_mul_f32_e32 v76, v76, v4                                 // 0000000051C0: 0A98094C
	v_mul_f32_e32 v77, v77, v5                                 // 0000000051C4: 0A9A0B4D
	v_mul_f32_e32 v78, v78, v6                                 // 0000000051C8: 0A9C0D4E
	v_mul_f32_e32 v79, v79, v7                                 // 0000000051CC: 0A9E0F4F
	v_mul_f32_e32 v76, v76, v132                               // 0000000051D0: 0A99094C
	v_mul_f32_e32 v77, v77, v133                               // 0000000051D4: 0A9B0B4D
	v_mul_f32_e32 v78, v78, v134                               // 0000000051D8: 0A9D0D4E
	v_mul_f32_e32 v79, v79, v135                               // 0000000051DC: 0A9F0F4F
	v_mul_f32_e64 v4, -v80, s6                                 // 0000000051E0: D1050004 20000D50
	v_mul_f32_e64 v5, -v81, s6                                 // 0000000051E8: D1050005 20000D51
	v_mul_f32_e64 v6, -v82, s6                                 // 0000000051F0: D1050006 20000D52
	v_mul_f32_e64 v7, -v83, s6                                 // 0000000051F8: D1050007 20000D53
	v_exp_f32_e32 v4, v4                                       // 000000005200: 7E084104
	v_exp_f32_e32 v5, v5                                       // 000000005204: 7E0A4105
	v_exp_f32_e32 v6, v6                                       // 000000005208: 7E0C4106
	v_exp_f32_e32 v7, v7                                       // 00000000520C: 7E0E4107
	v_add_f32_e64 v4, v4, 1.0                                  // 000000005210: D1010004 0001E504
	v_add_f32_e64 v5, v5, 1.0                                  // 000000005218: D1010005 0001E505
	v_add_f32_e64 v6, v6, 1.0                                  // 000000005220: D1010006 0001E506
	v_add_f32_e64 v7, v7, 1.0                                  // 000000005228: D1010007 0001E507
	v_rcp_f32_e32 v4, v4                                       // 000000005230: 7E084504
	v_rcp_f32_e32 v5, v5                                       // 000000005234: 7E0A4505
	v_rcp_f32_e32 v6, v6                                       // 000000005238: 7E0C4506
	v_rcp_f32_e32 v7, v7                                       // 00000000523C: 7E0E4507
	v_mul_f32_e32 v80, v80, v4                                 // 000000005240: 0AA00950
	v_mul_f32_e32 v81, v81, v5                                 // 000000005244: 0AA20B51
	v_mul_f32_e32 v82, v82, v6                                 // 000000005248: 0AA40D52
	v_mul_f32_e32 v83, v83, v7                                 // 00000000524C: 0AA60F53
	v_mul_f32_e32 v80, v80, v136                               // 000000005250: 0AA11150
	v_mul_f32_e32 v81, v81, v137                               // 000000005254: 0AA31351
	v_mul_f32_e32 v82, v82, v138                               // 000000005258: 0AA51552
	v_mul_f32_e32 v83, v83, v139                               // 00000000525C: 0AA71753
	v_mul_f32_e64 v4, -v84, s6                                 // 000000005260: D1050004 20000D54
	v_mul_f32_e64 v5, -v85, s6                                 // 000000005268: D1050005 20000D55
	v_mul_f32_e64 v6, -v86, s6                                 // 000000005270: D1050006 20000D56
	v_mul_f32_e64 v7, -v87, s6                                 // 000000005278: D1050007 20000D57
	v_exp_f32_e32 v4, v4                                       // 000000005280: 7E084104
	v_exp_f32_e32 v5, v5                                       // 000000005284: 7E0A4105
	v_exp_f32_e32 v6, v6                                       // 000000005288: 7E0C4106
	v_exp_f32_e32 v7, v7                                       // 00000000528C: 7E0E4107
	v_add_f32_e64 v4, v4, 1.0                                  // 000000005290: D1010004 0001E504
	v_add_f32_e64 v5, v5, 1.0                                  // 000000005298: D1010005 0001E505
	v_add_f32_e64 v6, v6, 1.0                                  // 0000000052A0: D1010006 0001E506
	v_add_f32_e64 v7, v7, 1.0                                  // 0000000052A8: D1010007 0001E507
	v_rcp_f32_e32 v4, v4                                       // 0000000052B0: 7E084504
	v_rcp_f32_e32 v5, v5                                       // 0000000052B4: 7E0A4505
	v_rcp_f32_e32 v6, v6                                       // 0000000052B8: 7E0C4506
	v_rcp_f32_e32 v7, v7                                       // 0000000052BC: 7E0E4507
	v_mul_f32_e32 v84, v84, v4                                 // 0000000052C0: 0AA80954
	v_mul_f32_e32 v85, v85, v5                                 // 0000000052C4: 0AAA0B55
	v_mul_f32_e32 v86, v86, v6                                 // 0000000052C8: 0AAC0D56
	v_mul_f32_e32 v87, v87, v7                                 // 0000000052CC: 0AAE0F57
	v_mul_f32_e32 v84, v84, v140                               // 0000000052D0: 0AA91954
	v_mul_f32_e32 v85, v85, v141                               // 0000000052D4: 0AAB1B55
	v_mul_f32_e32 v86, v86, v142                               // 0000000052D8: 0AAD1D56
	v_mul_f32_e32 v87, v87, v143                               // 0000000052DC: 0AAF1F57
	v_mul_f32_e64 v4, -v88, s6                                 // 0000000052E0: D1050004 20000D58
	v_mul_f32_e64 v5, -v89, s6                                 // 0000000052E8: D1050005 20000D59
	v_mul_f32_e64 v6, -v90, s6                                 // 0000000052F0: D1050006 20000D5A
	v_mul_f32_e64 v7, -v91, s6                                 // 0000000052F8: D1050007 20000D5B
	v_exp_f32_e32 v4, v4                                       // 000000005300: 7E084104
	v_exp_f32_e32 v5, v5                                       // 000000005304: 7E0A4105
	v_exp_f32_e32 v6, v6                                       // 000000005308: 7E0C4106
	v_exp_f32_e32 v7, v7                                       // 00000000530C: 7E0E4107
	v_add_f32_e64 v4, v4, 1.0                                  // 000000005310: D1010004 0001E504
	v_add_f32_e64 v5, v5, 1.0                                  // 000000005318: D1010005 0001E505
	v_add_f32_e64 v6, v6, 1.0                                  // 000000005320: D1010006 0001E506
	v_add_f32_e64 v7, v7, 1.0                                  // 000000005328: D1010007 0001E507
	v_rcp_f32_e32 v4, v4                                       // 000000005330: 7E084504
	v_rcp_f32_e32 v5, v5                                       // 000000005334: 7E0A4505
	v_rcp_f32_e32 v6, v6                                       // 000000005338: 7E0C4506
	v_rcp_f32_e32 v7, v7                                       // 00000000533C: 7E0E4507
	v_mul_f32_e32 v88, v88, v4                                 // 000000005340: 0AB00958
	v_mul_f32_e32 v89, v89, v5                                 // 000000005344: 0AB20B59
	v_mul_f32_e32 v90, v90, v6                                 // 000000005348: 0AB40D5A
	v_mul_f32_e32 v91, v91, v7                                 // 00000000534C: 0AB60F5B
	v_mul_f32_e32 v88, v88, v144                               // 000000005350: 0AB12158
	v_mul_f32_e32 v89, v89, v145                               // 000000005354: 0AB32359
	v_mul_f32_e32 v90, v90, v146                               // 000000005358: 0AB5255A
	v_mul_f32_e32 v91, v91, v147                               // 00000000535C: 0AB7275B
	v_mul_f32_e64 v4, -v92, s6                                 // 000000005360: D1050004 20000D5C
	v_mul_f32_e64 v5, -v93, s6                                 // 000000005368: D1050005 20000D5D
	v_mul_f32_e64 v6, -v94, s6                                 // 000000005370: D1050006 20000D5E
	v_mul_f32_e64 v7, -v95, s6                                 // 000000005378: D1050007 20000D5F
	v_exp_f32_e32 v4, v4                                       // 000000005380: 7E084104
	v_exp_f32_e32 v5, v5                                       // 000000005384: 7E0A4105
	v_exp_f32_e32 v6, v6                                       // 000000005388: 7E0C4106
	v_exp_f32_e32 v7, v7                                       // 00000000538C: 7E0E4107
	v_add_f32_e64 v4, v4, 1.0                                  // 000000005390: D1010004 0001E504
	v_add_f32_e64 v5, v5, 1.0                                  // 000000005398: D1010005 0001E505
	v_add_f32_e64 v6, v6, 1.0                                  // 0000000053A0: D1010006 0001E506
	v_add_f32_e64 v7, v7, 1.0                                  // 0000000053A8: D1010007 0001E507
	v_rcp_f32_e32 v4, v4                                       // 0000000053B0: 7E084504
	v_rcp_f32_e32 v5, v5                                       // 0000000053B4: 7E0A4505
	v_rcp_f32_e32 v6, v6                                       // 0000000053B8: 7E0C4506
	v_rcp_f32_e32 v7, v7                                       // 0000000053BC: 7E0E4507
	v_mul_f32_e32 v92, v92, v4                                 // 0000000053C0: 0AB8095C
	v_mul_f32_e32 v93, v93, v5                                 // 0000000053C4: 0ABA0B5D
	v_mul_f32_e32 v94, v94, v6                                 // 0000000053C8: 0ABC0D5E
	v_mul_f32_e32 v95, v95, v7                                 // 0000000053CC: 0ABE0F5F
	v_mul_f32_e32 v92, v92, v148                               // 0000000053D0: 0AB9295C
	v_mul_f32_e32 v93, v93, v149                               // 0000000053D4: 0ABB2B5D
	v_mul_f32_e32 v94, v94, v150                               // 0000000053D8: 0ABD2D5E
	v_mul_f32_e32 v95, v95, v151                               // 0000000053DC: 0ABF2F5F
	v_mul_f32_e64 v4, -v96, s6                                 // 0000000053E0: D1050004 20000D60
	v_mul_f32_e64 v5, -v97, s6                                 // 0000000053E8: D1050005 20000D61
	v_mul_f32_e64 v6, -v98, s6                                 // 0000000053F0: D1050006 20000D62
	v_mul_f32_e64 v7, -v99, s6                                 // 0000000053F8: D1050007 20000D63
	v_exp_f32_e32 v4, v4                                       // 000000005400: 7E084104
	v_exp_f32_e32 v5, v5                                       // 000000005404: 7E0A4105
	v_exp_f32_e32 v6, v6                                       // 000000005408: 7E0C4106
	v_exp_f32_e32 v7, v7                                       // 00000000540C: 7E0E4107
	v_add_f32_e64 v4, v4, 1.0                                  // 000000005410: D1010004 0001E504
	v_add_f32_e64 v5, v5, 1.0                                  // 000000005418: D1010005 0001E505
	v_add_f32_e64 v6, v6, 1.0                                  // 000000005420: D1010006 0001E506
	v_add_f32_e64 v7, v7, 1.0                                  // 000000005428: D1010007 0001E507
	v_rcp_f32_e32 v4, v4                                       // 000000005430: 7E084504
	v_rcp_f32_e32 v5, v5                                       // 000000005434: 7E0A4505
	v_rcp_f32_e32 v6, v6                                       // 000000005438: 7E0C4506
	v_rcp_f32_e32 v7, v7                                       // 00000000543C: 7E0E4507
	v_mul_f32_e32 v96, v96, v4                                 // 000000005440: 0AC00960
	v_mul_f32_e32 v97, v97, v5                                 // 000000005444: 0AC20B61
	v_mul_f32_e32 v98, v98, v6                                 // 000000005448: 0AC40D62
	v_mul_f32_e32 v99, v99, v7                                 // 00000000544C: 0AC60F63
	v_mul_f32_e32 v96, v96, v152                               // 000000005450: 0AC13160
	v_mul_f32_e32 v97, v97, v153                               // 000000005454: 0AC33361
	v_mul_f32_e32 v98, v98, v154                               // 000000005458: 0AC53562
	v_mul_f32_e32 v99, v99, v155                               // 00000000545C: 0AC73763
	v_mul_f32_e64 v4, -v100, s6                                // 000000005460: D1050004 20000D64
	v_mul_f32_e64 v5, -v101, s6                                // 000000005468: D1050005 20000D65
	v_mul_f32_e64 v6, -v102, s6                                // 000000005470: D1050006 20000D66
	v_mul_f32_e64 v7, -v103, s6                                // 000000005478: D1050007 20000D67
	v_exp_f32_e32 v4, v4                                       // 000000005480: 7E084104
	v_exp_f32_e32 v5, v5                                       // 000000005484: 7E0A4105
	v_exp_f32_e32 v6, v6                                       // 000000005488: 7E0C4106
	v_exp_f32_e32 v7, v7                                       // 00000000548C: 7E0E4107
	v_add_f32_e64 v4, v4, 1.0                                  // 000000005490: D1010004 0001E504
	v_add_f32_e64 v5, v5, 1.0                                  // 000000005498: D1010005 0001E505
	v_add_f32_e64 v6, v6, 1.0                                  // 0000000054A0: D1010006 0001E506
	v_add_f32_e64 v7, v7, 1.0                                  // 0000000054A8: D1010007 0001E507
	v_rcp_f32_e32 v4, v4                                       // 0000000054B0: 7E084504
	v_rcp_f32_e32 v5, v5                                       // 0000000054B4: 7E0A4505
	v_rcp_f32_e32 v6, v6                                       // 0000000054B8: 7E0C4506
	v_rcp_f32_e32 v7, v7                                       // 0000000054BC: 7E0E4507
	v_mul_f32_e32 v100, v100, v4                               // 0000000054C0: 0AC80964
	v_mul_f32_e32 v101, v101, v5                               // 0000000054C4: 0ACA0B65
	v_mul_f32_e32 v102, v102, v6                               // 0000000054C8: 0ACC0D66
	v_mul_f32_e32 v103, v103, v7                               // 0000000054CC: 0ACE0F67
	v_mul_f32_e32 v100, v100, v156                             // 0000000054D0: 0AC93964
	v_mul_f32_e32 v101, v101, v157                             // 0000000054D4: 0ACB3B65
	v_mul_f32_e32 v102, v102, v158                             // 0000000054D8: 0ACD3D66
	v_mul_f32_e32 v103, v103, v159                             // 0000000054DC: 0ACF3F67
	v_mul_f32_e64 v4, -v104, s6                                // 0000000054E0: D1050004 20000D68
	v_mul_f32_e64 v5, -v105, s6                                // 0000000054E8: D1050005 20000D69
	v_mul_f32_e64 v6, -v106, s6                                // 0000000054F0: D1050006 20000D6A
	v_mul_f32_e64 v7, -v107, s6                                // 0000000054F8: D1050007 20000D6B
	v_exp_f32_e32 v4, v4                                       // 000000005500: 7E084104
	v_exp_f32_e32 v5, v5                                       // 000000005504: 7E0A4105
	v_exp_f32_e32 v6, v6                                       // 000000005508: 7E0C4106
	v_exp_f32_e32 v7, v7                                       // 00000000550C: 7E0E4107
	v_add_f32_e64 v4, v4, 1.0                                  // 000000005510: D1010004 0001E504
	v_add_f32_e64 v5, v5, 1.0                                  // 000000005518: D1010005 0001E505
	v_add_f32_e64 v6, v6, 1.0                                  // 000000005520: D1010006 0001E506
	v_add_f32_e64 v7, v7, 1.0                                  // 000000005528: D1010007 0001E507
	v_rcp_f32_e32 v4, v4                                       // 000000005530: 7E084504
	v_rcp_f32_e32 v5, v5                                       // 000000005534: 7E0A4505
	v_rcp_f32_e32 v6, v6                                       // 000000005538: 7E0C4506
	v_rcp_f32_e32 v7, v7                                       // 00000000553C: 7E0E4507
	v_mul_f32_e32 v104, v104, v4                               // 000000005540: 0AD00968
	v_mul_f32_e32 v105, v105, v5                               // 000000005544: 0AD20B69
	v_mul_f32_e32 v106, v106, v6                               // 000000005548: 0AD40D6A
	v_mul_f32_e32 v107, v107, v7                               // 00000000554C: 0AD60F6B
	v_mul_f32_e32 v104, v104, v160                             // 000000005550: 0AD14168
	v_mul_f32_e32 v105, v105, v161                             // 000000005554: 0AD34369
	v_mul_f32_e32 v106, v106, v162                             // 000000005558: 0AD5456A
	v_mul_f32_e32 v107, v107, v163                             // 00000000555C: 0AD7476B
	v_mul_f32_e64 v4, -v108, s6                                // 000000005560: D1050004 20000D6C
	v_mul_f32_e64 v5, -v109, s6                                // 000000005568: D1050005 20000D6D
	v_mul_f32_e64 v6, -v110, s6                                // 000000005570: D1050006 20000D6E
	v_mul_f32_e64 v7, -v111, s6                                // 000000005578: D1050007 20000D6F
	v_exp_f32_e32 v4, v4                                       // 000000005580: 7E084104
	v_exp_f32_e32 v5, v5                                       // 000000005584: 7E0A4105
	v_exp_f32_e32 v6, v6                                       // 000000005588: 7E0C4106
	v_exp_f32_e32 v7, v7                                       // 00000000558C: 7E0E4107
	v_add_f32_e64 v4, v4, 1.0                                  // 000000005590: D1010004 0001E504
	v_add_f32_e64 v5, v5, 1.0                                  // 000000005598: D1010005 0001E505
	v_add_f32_e64 v6, v6, 1.0                                  // 0000000055A0: D1010006 0001E506
	v_add_f32_e64 v7, v7, 1.0                                  // 0000000055A8: D1010007 0001E507
	v_rcp_f32_e32 v4, v4                                       // 0000000055B0: 7E084504
	v_rcp_f32_e32 v5, v5                                       // 0000000055B4: 7E0A4505
	v_rcp_f32_e32 v6, v6                                       // 0000000055B8: 7E0C4506
	v_rcp_f32_e32 v7, v7                                       // 0000000055BC: 7E0E4507
	v_mul_f32_e32 v108, v108, v4                               // 0000000055C0: 0AD8096C
	v_mul_f32_e32 v109, v109, v5                               // 0000000055C4: 0ADA0B6D
	v_mul_f32_e32 v110, v110, v6                               // 0000000055C8: 0ADC0D6E
	v_mul_f32_e32 v111, v111, v7                               // 0000000055CC: 0ADE0F6F
	v_mul_f32_e32 v108, v108, v164                             // 0000000055D0: 0AD9496C
	v_mul_f32_e32 v109, v109, v165                             // 0000000055D4: 0ADB4B6D
	v_mul_f32_e32 v110, v110, v166                             // 0000000055D8: 0ADD4D6E
	v_mul_f32_e32 v111, v111, v167                             // 0000000055DC: 0ADF4F6F
	v_mul_f32_e64 v4, -v112, s6                                // 0000000055E0: D1050004 20000D70
	v_mul_f32_e64 v5, -v113, s6                                // 0000000055E8: D1050005 20000D71
	v_mul_f32_e64 v6, -v114, s6                                // 0000000055F0: D1050006 20000D72
	v_mul_f32_e64 v7, -v115, s6                                // 0000000055F8: D1050007 20000D73
	v_exp_f32_e32 v4, v4                                       // 000000005600: 7E084104
	v_exp_f32_e32 v5, v5                                       // 000000005604: 7E0A4105
	v_exp_f32_e32 v6, v6                                       // 000000005608: 7E0C4106
	v_exp_f32_e32 v7, v7                                       // 00000000560C: 7E0E4107
	v_add_f32_e64 v4, v4, 1.0                                  // 000000005610: D1010004 0001E504
	v_add_f32_e64 v5, v5, 1.0                                  // 000000005618: D1010005 0001E505
	v_add_f32_e64 v6, v6, 1.0                                  // 000000005620: D1010006 0001E506
	v_add_f32_e64 v7, v7, 1.0                                  // 000000005628: D1010007 0001E507
	v_rcp_f32_e32 v4, v4                                       // 000000005630: 7E084504
	v_rcp_f32_e32 v5, v5                                       // 000000005634: 7E0A4505
	v_rcp_f32_e32 v6, v6                                       // 000000005638: 7E0C4506
	v_rcp_f32_e32 v7, v7                                       // 00000000563C: 7E0E4507
	v_mul_f32_e32 v112, v112, v4                               // 000000005640: 0AE00970
	v_mul_f32_e32 v113, v113, v5                               // 000000005644: 0AE20B71
	v_mul_f32_e32 v114, v114, v6                               // 000000005648: 0AE40D72
	v_mul_f32_e32 v115, v115, v7                               // 00000000564C: 0AE60F73
	v_mul_f32_e32 v112, v112, v168                             // 000000005650: 0AE15170
	v_mul_f32_e32 v113, v113, v169                             // 000000005654: 0AE35371
	v_mul_f32_e32 v114, v114, v170                             // 000000005658: 0AE55572
	v_mul_f32_e32 v115, v115, v171                             // 00000000565C: 0AE75773
	v_mul_f32_e64 v4, -v116, s6                                // 000000005660: D1050004 20000D74
	v_mul_f32_e64 v5, -v117, s6                                // 000000005668: D1050005 20000D75
	v_mul_f32_e64 v6, -v118, s6                                // 000000005670: D1050006 20000D76
	v_mul_f32_e64 v7, -v119, s6                                // 000000005678: D1050007 20000D77
	v_exp_f32_e32 v4, v4                                       // 000000005680: 7E084104
	v_exp_f32_e32 v5, v5                                       // 000000005684: 7E0A4105
	v_exp_f32_e32 v6, v6                                       // 000000005688: 7E0C4106
	v_exp_f32_e32 v7, v7                                       // 00000000568C: 7E0E4107
	v_add_f32_e64 v4, v4, 1.0                                  // 000000005690: D1010004 0001E504
	v_add_f32_e64 v5, v5, 1.0                                  // 000000005698: D1010005 0001E505
	v_add_f32_e64 v6, v6, 1.0                                  // 0000000056A0: D1010006 0001E506
	v_add_f32_e64 v7, v7, 1.0                                  // 0000000056A8: D1010007 0001E507
	v_rcp_f32_e32 v4, v4                                       // 0000000056B0: 7E084504
	v_rcp_f32_e32 v5, v5                                       // 0000000056B4: 7E0A4505
	v_rcp_f32_e32 v6, v6                                       // 0000000056B8: 7E0C4506
	v_rcp_f32_e32 v7, v7                                       // 0000000056BC: 7E0E4507
	v_mul_f32_e32 v116, v116, v4                               // 0000000056C0: 0AE80974
	v_mul_f32_e32 v117, v117, v5                               // 0000000056C4: 0AEA0B75
	v_mul_f32_e32 v118, v118, v6                               // 0000000056C8: 0AEC0D76
	v_mul_f32_e32 v119, v119, v7                               // 0000000056CC: 0AEE0F77
	v_mul_f32_e32 v116, v116, v172                             // 0000000056D0: 0AE95974
	v_mul_f32_e32 v117, v117, v173                             // 0000000056D4: 0AEB5B75
	v_mul_f32_e32 v118, v118, v174                             // 0000000056D8: 0AED5D76
	v_mul_f32_e32 v119, v119, v175                             // 0000000056DC: 0AEF5F77
	v_mul_f32_e64 v4, -v120, s6                                // 0000000056E0: D1050004 20000D78
	v_mul_f32_e64 v5, -v121, s6                                // 0000000056E8: D1050005 20000D79
	v_mul_f32_e64 v6, -v122, s6                                // 0000000056F0: D1050006 20000D7A
	v_mul_f32_e64 v7, -v123, s6                                // 0000000056F8: D1050007 20000D7B
	v_exp_f32_e32 v4, v4                                       // 000000005700: 7E084104
	v_exp_f32_e32 v5, v5                                       // 000000005704: 7E0A4105
	v_exp_f32_e32 v6, v6                                       // 000000005708: 7E0C4106
	v_exp_f32_e32 v7, v7                                       // 00000000570C: 7E0E4107
	v_add_f32_e64 v4, v4, 1.0                                  // 000000005710: D1010004 0001E504
	v_add_f32_e64 v5, v5, 1.0                                  // 000000005718: D1010005 0001E505
	v_add_f32_e64 v6, v6, 1.0                                  // 000000005720: D1010006 0001E506
	v_add_f32_e64 v7, v7, 1.0                                  // 000000005728: D1010007 0001E507
	v_rcp_f32_e32 v4, v4                                       // 000000005730: 7E084504
	v_rcp_f32_e32 v5, v5                                       // 000000005734: 7E0A4505
	v_rcp_f32_e32 v6, v6                                       // 000000005738: 7E0C4506
	v_rcp_f32_e32 v7, v7                                       // 00000000573C: 7E0E4507
	v_mul_f32_e32 v120, v120, v4                               // 000000005740: 0AF00978
	v_mul_f32_e32 v121, v121, v5                               // 000000005744: 0AF20B79
	v_mul_f32_e32 v122, v122, v6                               // 000000005748: 0AF40D7A
	v_mul_f32_e32 v123, v123, v7                               // 00000000574C: 0AF60F7B
	v_mul_f32_e32 v120, v120, v176                             // 000000005750: 0AF16178
	v_mul_f32_e32 v121, v121, v177                             // 000000005754: 0AF36379
	v_mul_f32_e32 v122, v122, v178                             // 000000005758: 0AF5657A
	v_mul_f32_e32 v123, v123, v179                             // 00000000575C: 0AF7677B
	v_mul_f32_e64 v4, -v124, s6                                // 000000005760: D1050004 20000D7C
	v_mul_f32_e64 v5, -v125, s6                                // 000000005768: D1050005 20000D7D
	v_mul_f32_e64 v6, -v126, s6                                // 000000005770: D1050006 20000D7E
	v_mul_f32_e64 v7, -v127, s6                                // 000000005778: D1050007 20000D7F
	v_exp_f32_e32 v4, v4                                       // 000000005780: 7E084104
	v_exp_f32_e32 v5, v5                                       // 000000005784: 7E0A4105
	v_exp_f32_e32 v6, v6                                       // 000000005788: 7E0C4106
	v_exp_f32_e32 v7, v7                                       // 00000000578C: 7E0E4107
	v_add_f32_e64 v4, v4, 1.0                                  // 000000005790: D1010004 0001E504
	v_add_f32_e64 v5, v5, 1.0                                  // 000000005798: D1010005 0001E505
	v_add_f32_e64 v6, v6, 1.0                                  // 0000000057A0: D1010006 0001E506
	v_add_f32_e64 v7, v7, 1.0                                  // 0000000057A8: D1010007 0001E507
	v_rcp_f32_e32 v4, v4                                       // 0000000057B0: 7E084504
	v_rcp_f32_e32 v5, v5                                       // 0000000057B4: 7E0A4505
	v_rcp_f32_e32 v6, v6                                       // 0000000057B8: 7E0C4506
	v_rcp_f32_e32 v7, v7                                       // 0000000057BC: 7E0E4507
	v_mul_f32_e32 v124, v124, v4                               // 0000000057C0: 0AF8097C
	v_mul_f32_e32 v125, v125, v5                               // 0000000057C4: 0AFA0B7D
	v_mul_f32_e32 v126, v126, v6                               // 0000000057C8: 0AFC0D7E
	v_mul_f32_e32 v127, v127, v7                               // 0000000057CC: 0AFE0F7F
	v_mul_f32_e32 v124, v124, v180                             // 0000000057D0: 0AF9697C
	v_mul_f32_e32 v125, v125, v181                             // 0000000057D4: 0AFB6B7D
	v_mul_f32_e32 v126, v126, v182                             // 0000000057D8: 0AFD6D7E
	v_mul_f32_e32 v127, v127, v183                             // 0000000057DC: 0AFF6F7F

00000000000057e0 <label_0B78>:
	v_cmp_u_f32_e64 s[46:47], v72, v72                         // 0000000057E0: D048002E 00029148
	v_add3_u32 v16, v72, v19, 1                                // 0000000057E8: D1FF0010 02062748
	v_cndmask_b32_e64 v4, v16, v18, s[46:47]                   // 0000000057F0: D1000004 00BA2510
	v_cmp_u_f32_e64 s[46:47], v73, v73                         // 0000000057F8: D048002E 00029349
	v_add3_u32 v16, v73, v19, 1                                // 000000005800: D1FF0010 02062749
	v_cndmask_b32_e64 v5, v16, v18, s[46:47]                   // 000000005808: D1000005 00BA2510
	v_perm_b32 v72, v5, v4, s52                                // 000000005810: D1ED0048 00D20905
	v_cmp_u_f32_e64 s[46:47], v74, v74                         // 000000005818: D048002E 0002954A
	v_add3_u32 v16, v74, v19, 1                                // 000000005820: D1FF0010 0206274A
	v_cndmask_b32_e64 v4, v16, v18, s[46:47]                   // 000000005828: D1000004 00BA2510
	v_cmp_u_f32_e64 s[46:47], v75, v75                         // 000000005830: D048002E 0002974B
	v_add3_u32 v16, v75, v19, 1                                // 000000005838: D1FF0010 0206274B
	v_cndmask_b32_e64 v5, v16, v18, s[46:47]                   // 000000005840: D1000005 00BA2510
	v_perm_b32 v73, v5, v4, s52                                // 000000005848: D1ED0049 00D20905
	v_cmp_u_f32_e64 s[46:47], v76, v76                         // 000000005850: D048002E 0002994C
	v_add3_u32 v16, v76, v19, 1                                // 000000005858: D1FF0010 0206274C
	v_cndmask_b32_e64 v4, v16, v18, s[46:47]                   // 000000005860: D1000004 00BA2510
	v_cmp_u_f32_e64 s[46:47], v77, v77                         // 000000005868: D048002E 00029B4D
	v_add3_u32 v16, v77, v19, 1                                // 000000005870: D1FF0010 0206274D
	v_cndmask_b32_e64 v5, v16, v18, s[46:47]                   // 000000005878: D1000005 00BA2510
	v_perm_b32 v74, v5, v4, s52                                // 000000005880: D1ED004A 00D20905
	v_cmp_u_f32_e64 s[46:47], v78, v78                         // 000000005888: D048002E 00029D4E
	v_add3_u32 v16, v78, v19, 1                                // 000000005890: D1FF0010 0206274E
	v_cndmask_b32_e64 v4, v16, v18, s[46:47]                   // 000000005898: D1000004 00BA2510
	v_cmp_u_f32_e64 s[46:47], v79, v79                         // 0000000058A0: D048002E 00029F4F
	v_add3_u32 v16, v79, v19, 1                                // 0000000058A8: D1FF0010 0206274F
	v_cndmask_b32_e64 v5, v16, v18, s[46:47]                   // 0000000058B0: D1000005 00BA2510
	v_perm_b32 v75, v5, v4, s52                                // 0000000058B8: D1ED004B 00D20905
	v_cmp_u_f32_e64 s[46:47], v80, v80                         // 0000000058C0: D048002E 0002A150
	v_add3_u32 v16, v80, v19, 1                                // 0000000058C8: D1FF0010 02062750
	v_cndmask_b32_e64 v4, v16, v18, s[46:47]                   // 0000000058D0: D1000004 00BA2510
	v_cmp_u_f32_e64 s[46:47], v81, v81                         // 0000000058D8: D048002E 0002A351
	v_add3_u32 v16, v81, v19, 1                                // 0000000058E0: D1FF0010 02062751
	v_cndmask_b32_e64 v5, v16, v18, s[46:47]                   // 0000000058E8: D1000005 00BA2510
	v_perm_b32 v76, v5, v4, s52                                // 0000000058F0: D1ED004C 00D20905
	v_cmp_u_f32_e64 s[46:47], v82, v82                         // 0000000058F8: D048002E 0002A552
	v_add3_u32 v16, v82, v19, 1                                // 000000005900: D1FF0010 02062752
	v_cndmask_b32_e64 v4, v16, v18, s[46:47]                   // 000000005908: D1000004 00BA2510
	v_cmp_u_f32_e64 s[46:47], v83, v83                         // 000000005910: D048002E 0002A753
	v_add3_u32 v16, v83, v19, 1                                // 000000005918: D1FF0010 02062753
	v_cndmask_b32_e64 v5, v16, v18, s[46:47]                   // 000000005920: D1000005 00BA2510
	v_perm_b32 v77, v5, v4, s52                                // 000000005928: D1ED004D 00D20905
	v_cmp_u_f32_e64 s[46:47], v84, v84                         // 000000005930: D048002E 0002A954
	v_add3_u32 v16, v84, v19, 1                                // 000000005938: D1FF0010 02062754
	v_cndmask_b32_e64 v4, v16, v18, s[46:47]                   // 000000005940: D1000004 00BA2510
	v_cmp_u_f32_e64 s[46:47], v85, v85                         // 000000005948: D048002E 0002AB55
	v_add3_u32 v16, v85, v19, 1                                // 000000005950: D1FF0010 02062755
	v_cndmask_b32_e64 v5, v16, v18, s[46:47]                   // 000000005958: D1000005 00BA2510
	v_perm_b32 v78, v5, v4, s52                                // 000000005960: D1ED004E 00D20905
	v_cmp_u_f32_e64 s[46:47], v86, v86                         // 000000005968: D048002E 0002AD56
	v_add3_u32 v16, v86, v19, 1                                // 000000005970: D1FF0010 02062756
	v_cndmask_b32_e64 v4, v16, v18, s[46:47]                   // 000000005978: D1000004 00BA2510
	v_cmp_u_f32_e64 s[46:47], v87, v87                         // 000000005980: D048002E 0002AF57
	v_add3_u32 v16, v87, v19, 1                                // 000000005988: D1FF0010 02062757
	v_cndmask_b32_e64 v5, v16, v18, s[46:47]                   // 000000005990: D1000005 00BA2510
	v_perm_b32 v79, v5, v4, s52                                // 000000005998: D1ED004F 00D20905
	v_cmp_u_f32_e64 s[46:47], v88, v88                         // 0000000059A0: D048002E 0002B158
	v_add3_u32 v16, v88, v19, 1                                // 0000000059A8: D1FF0010 02062758
	v_cndmask_b32_e64 v4, v16, v18, s[46:47]                   // 0000000059B0: D1000004 00BA2510
	v_cmp_u_f32_e64 s[46:47], v89, v89                         // 0000000059B8: D048002E 0002B359
	v_add3_u32 v16, v89, v19, 1                                // 0000000059C0: D1FF0010 02062759
	v_cndmask_b32_e64 v5, v16, v18, s[46:47]                   // 0000000059C8: D1000005 00BA2510
	v_perm_b32 v80, v5, v4, s52                                // 0000000059D0: D1ED0050 00D20905
	v_cmp_u_f32_e64 s[46:47], v90, v90                         // 0000000059D8: D048002E 0002B55A
	v_add3_u32 v16, v90, v19, 1                                // 0000000059E0: D1FF0010 0206275A
	v_cndmask_b32_e64 v4, v16, v18, s[46:47]                   // 0000000059E8: D1000004 00BA2510
	v_cmp_u_f32_e64 s[46:47], v91, v91                         // 0000000059F0: D048002E 0002B75B
	v_add3_u32 v16, v91, v19, 1                                // 0000000059F8: D1FF0010 0206275B
	v_cndmask_b32_e64 v5, v16, v18, s[46:47]                   // 000000005A00: D1000005 00BA2510
	v_perm_b32 v81, v5, v4, s52                                // 000000005A08: D1ED0051 00D20905
	v_cmp_u_f32_e64 s[46:47], v92, v92                         // 000000005A10: D048002E 0002B95C
	v_add3_u32 v16, v92, v19, 1                                // 000000005A18: D1FF0010 0206275C
	v_cndmask_b32_e64 v4, v16, v18, s[46:47]                   // 000000005A20: D1000004 00BA2510
	v_cmp_u_f32_e64 s[46:47], v93, v93                         // 000000005A28: D048002E 0002BB5D
	v_add3_u32 v16, v93, v19, 1                                // 000000005A30: D1FF0010 0206275D
	v_cndmask_b32_e64 v5, v16, v18, s[46:47]                   // 000000005A38: D1000005 00BA2510
	v_perm_b32 v82, v5, v4, s52                                // 000000005A40: D1ED0052 00D20905
	v_cmp_u_f32_e64 s[46:47], v94, v94                         // 000000005A48: D048002E 0002BD5E
	v_add3_u32 v16, v94, v19, 1                                // 000000005A50: D1FF0010 0206275E
	v_cndmask_b32_e64 v4, v16, v18, s[46:47]                   // 000000005A58: D1000004 00BA2510
	v_cmp_u_f32_e64 s[46:47], v95, v95                         // 000000005A60: D048002E 0002BF5F
	v_add3_u32 v16, v95, v19, 1                                // 000000005A68: D1FF0010 0206275F
	v_cndmask_b32_e64 v5, v16, v18, s[46:47]                   // 000000005A70: D1000005 00BA2510
	v_perm_b32 v83, v5, v4, s52                                // 000000005A78: D1ED0053 00D20905
	v_cmp_u_f32_e64 s[46:47], v96, v96                         // 000000005A80: D048002E 0002C160
	v_add3_u32 v16, v96, v19, 1                                // 000000005A88: D1FF0010 02062760
	v_cndmask_b32_e64 v4, v16, v18, s[46:47]                   // 000000005A90: D1000004 00BA2510
	v_cmp_u_f32_e64 s[46:47], v97, v97                         // 000000005A98: D048002E 0002C361
	v_add3_u32 v16, v97, v19, 1                                // 000000005AA0: D1FF0010 02062761
	v_cndmask_b32_e64 v5, v16, v18, s[46:47]                   // 000000005AA8: D1000005 00BA2510
	v_perm_b32 v84, v5, v4, s52                                // 000000005AB0: D1ED0054 00D20905
	v_cmp_u_f32_e64 s[46:47], v98, v98                         // 000000005AB8: D048002E 0002C562
	v_add3_u32 v16, v98, v19, 1                                // 000000005AC0: D1FF0010 02062762
	v_cndmask_b32_e64 v4, v16, v18, s[46:47]                   // 000000005AC8: D1000004 00BA2510
	v_cmp_u_f32_e64 s[46:47], v99, v99                         // 000000005AD0: D048002E 0002C763
	v_add3_u32 v16, v99, v19, 1                                // 000000005AD8: D1FF0010 02062763
	v_cndmask_b32_e64 v5, v16, v18, s[46:47]                   // 000000005AE0: D1000005 00BA2510
	v_perm_b32 v85, v5, v4, s52                                // 000000005AE8: D1ED0055 00D20905
	v_cmp_u_f32_e64 s[46:47], v100, v100                       // 000000005AF0: D048002E 0002C964
	v_add3_u32 v16, v100, v19, 1                               // 000000005AF8: D1FF0010 02062764
	v_cndmask_b32_e64 v4, v16, v18, s[46:47]                   // 000000005B00: D1000004 00BA2510
	v_cmp_u_f32_e64 s[46:47], v101, v101                       // 000000005B08: D048002E 0002CB65
	v_add3_u32 v16, v101, v19, 1                               // 000000005B10: D1FF0010 02062765
	v_cndmask_b32_e64 v5, v16, v18, s[46:47]                   // 000000005B18: D1000005 00BA2510
	v_perm_b32 v86, v5, v4, s52                                // 000000005B20: D1ED0056 00D20905
	v_cmp_u_f32_e64 s[46:47], v102, v102                       // 000000005B28: D048002E 0002CD66
	v_add3_u32 v16, v102, v19, 1                               // 000000005B30: D1FF0010 02062766
	v_cndmask_b32_e64 v4, v16, v18, s[46:47]                   // 000000005B38: D1000004 00BA2510
	v_cmp_u_f32_e64 s[46:47], v103, v103                       // 000000005B40: D048002E 0002CF67
	v_add3_u32 v16, v103, v19, 1                               // 000000005B48: D1FF0010 02062767
	v_cndmask_b32_e64 v5, v16, v18, s[46:47]                   // 000000005B50: D1000005 00BA2510
	v_perm_b32 v87, v5, v4, s52                                // 000000005B58: D1ED0057 00D20905
	v_cmp_u_f32_e64 s[46:47], v104, v104                       // 000000005B60: D048002E 0002D168
	v_add3_u32 v16, v104, v19, 1                               // 000000005B68: D1FF0010 02062768
	v_cndmask_b32_e64 v4, v16, v18, s[46:47]                   // 000000005B70: D1000004 00BA2510
	v_cmp_u_f32_e64 s[46:47], v105, v105                       // 000000005B78: D048002E 0002D369
	v_add3_u32 v16, v105, v19, 1                               // 000000005B80: D1FF0010 02062769
	v_cndmask_b32_e64 v5, v16, v18, s[46:47]                   // 000000005B88: D1000005 00BA2510
	v_perm_b32 v88, v5, v4, s52                                // 000000005B90: D1ED0058 00D20905
	v_cmp_u_f32_e64 s[46:47], v106, v106                       // 000000005B98: D048002E 0002D56A
	v_add3_u32 v16, v106, v19, 1                               // 000000005BA0: D1FF0010 0206276A
	v_cndmask_b32_e64 v4, v16, v18, s[46:47]                   // 000000005BA8: D1000004 00BA2510
	v_cmp_u_f32_e64 s[46:47], v107, v107                       // 000000005BB0: D048002E 0002D76B
	v_add3_u32 v16, v107, v19, 1                               // 000000005BB8: D1FF0010 0206276B
	v_cndmask_b32_e64 v5, v16, v18, s[46:47]                   // 000000005BC0: D1000005 00BA2510
	v_perm_b32 v89, v5, v4, s52                                // 000000005BC8: D1ED0059 00D20905
	v_cmp_u_f32_e64 s[46:47], v108, v108                       // 000000005BD0: D048002E 0002D96C
	v_add3_u32 v16, v108, v19, 1                               // 000000005BD8: D1FF0010 0206276C
	v_cndmask_b32_e64 v4, v16, v18, s[46:47]                   // 000000005BE0: D1000004 00BA2510
	v_cmp_u_f32_e64 s[46:47], v109, v109                       // 000000005BE8: D048002E 0002DB6D
	v_add3_u32 v16, v109, v19, 1                               // 000000005BF0: D1FF0010 0206276D
	v_cndmask_b32_e64 v5, v16, v18, s[46:47]                   // 000000005BF8: D1000005 00BA2510
	v_perm_b32 v90, v5, v4, s52                                // 000000005C00: D1ED005A 00D20905
	v_cmp_u_f32_e64 s[46:47], v110, v110                       // 000000005C08: D048002E 0002DD6E
	v_add3_u32 v16, v110, v19, 1                               // 000000005C10: D1FF0010 0206276E
	v_cndmask_b32_e64 v4, v16, v18, s[46:47]                   // 000000005C18: D1000004 00BA2510
	v_cmp_u_f32_e64 s[46:47], v111, v111                       // 000000005C20: D048002E 0002DF6F
	v_add3_u32 v16, v111, v19, 1                               // 000000005C28: D1FF0010 0206276F
	v_cndmask_b32_e64 v5, v16, v18, s[46:47]                   // 000000005C30: D1000005 00BA2510
	v_perm_b32 v91, v5, v4, s52                                // 000000005C38: D1ED005B 00D20905
	v_cmp_u_f32_e64 s[46:47], v112, v112                       // 000000005C40: D048002E 0002E170
	v_add3_u32 v16, v112, v19, 1                               // 000000005C48: D1FF0010 02062770
	v_cndmask_b32_e64 v4, v16, v18, s[46:47]                   // 000000005C50: D1000004 00BA2510
	v_cmp_u_f32_e64 s[46:47], v113, v113                       // 000000005C58: D048002E 0002E371
	v_add3_u32 v16, v113, v19, 1                               // 000000005C60: D1FF0010 02062771
	v_cndmask_b32_e64 v5, v16, v18, s[46:47]                   // 000000005C68: D1000005 00BA2510
	v_perm_b32 v92, v5, v4, s52                                // 000000005C70: D1ED005C 00D20905
	v_cmp_u_f32_e64 s[46:47], v114, v114                       // 000000005C78: D048002E 0002E572
	v_add3_u32 v16, v114, v19, 1                               // 000000005C80: D1FF0010 02062772
	v_cndmask_b32_e64 v4, v16, v18, s[46:47]                   // 000000005C88: D1000004 00BA2510
	v_cmp_u_f32_e64 s[46:47], v115, v115                       // 000000005C90: D048002E 0002E773
	v_add3_u32 v16, v115, v19, 1                               // 000000005C98: D1FF0010 02062773
	v_cndmask_b32_e64 v5, v16, v18, s[46:47]                   // 000000005CA0: D1000005 00BA2510
	v_perm_b32 v93, v5, v4, s52                                // 000000005CA8: D1ED005D 00D20905
	v_cmp_u_f32_e64 s[46:47], v116, v116                       // 000000005CB0: D048002E 0002E974
	v_add3_u32 v16, v116, v19, 1                               // 000000005CB8: D1FF0010 02062774
	v_cndmask_b32_e64 v4, v16, v18, s[46:47]                   // 000000005CC0: D1000004 00BA2510
	v_cmp_u_f32_e64 s[46:47], v117, v117                       // 000000005CC8: D048002E 0002EB75
	v_add3_u32 v16, v117, v19, 1                               // 000000005CD0: D1FF0010 02062775
	v_cndmask_b32_e64 v5, v16, v18, s[46:47]                   // 000000005CD8: D1000005 00BA2510
	v_perm_b32 v94, v5, v4, s52                                // 000000005CE0: D1ED005E 00D20905
	v_cmp_u_f32_e64 s[46:47], v118, v118                       // 000000005CE8: D048002E 0002ED76
	v_add3_u32 v16, v118, v19, 1                               // 000000005CF0: D1FF0010 02062776
	v_cndmask_b32_e64 v4, v16, v18, s[46:47]                   // 000000005CF8: D1000004 00BA2510
	v_cmp_u_f32_e64 s[46:47], v119, v119                       // 000000005D00: D048002E 0002EF77
	v_add3_u32 v16, v119, v19, 1                               // 000000005D08: D1FF0010 02062777
	v_cndmask_b32_e64 v5, v16, v18, s[46:47]                   // 000000005D10: D1000005 00BA2510
	v_perm_b32 v95, v5, v4, s52                                // 000000005D18: D1ED005F 00D20905
	v_cmp_u_f32_e64 s[46:47], v120, v120                       // 000000005D20: D048002E 0002F178
	v_add3_u32 v16, v120, v19, 1                               // 000000005D28: D1FF0010 02062778
	v_cndmask_b32_e64 v4, v16, v18, s[46:47]                   // 000000005D30: D1000004 00BA2510
	v_cmp_u_f32_e64 s[46:47], v121, v121                       // 000000005D38: D048002E 0002F379
	v_add3_u32 v16, v121, v19, 1                               // 000000005D40: D1FF0010 02062779
	v_cndmask_b32_e64 v5, v16, v18, s[46:47]                   // 000000005D48: D1000005 00BA2510
	v_perm_b32 v96, v5, v4, s52                                // 000000005D50: D1ED0060 00D20905
	v_cmp_u_f32_e64 s[46:47], v122, v122                       // 000000005D58: D048002E 0002F57A
	v_add3_u32 v16, v122, v19, 1                               // 000000005D60: D1FF0010 0206277A
	v_cndmask_b32_e64 v4, v16, v18, s[46:47]                   // 000000005D68: D1000004 00BA2510
	v_cmp_u_f32_e64 s[46:47], v123, v123                       // 000000005D70: D048002E 0002F77B
	v_add3_u32 v16, v123, v19, 1                               // 000000005D78: D1FF0010 0206277B
	v_cndmask_b32_e64 v5, v16, v18, s[46:47]                   // 000000005D80: D1000005 00BA2510
	v_perm_b32 v97, v5, v4, s52                                // 000000005D88: D1ED0061 00D20905
	v_cmp_u_f32_e64 s[46:47], v124, v124                       // 000000005D90: D048002E 0002F97C
	v_add3_u32 v16, v124, v19, 1                               // 000000005D98: D1FF0010 0206277C
	v_cndmask_b32_e64 v4, v16, v18, s[46:47]                   // 000000005DA0: D1000004 00BA2510
	v_cmp_u_f32_e64 s[46:47], v125, v125                       // 000000005DA8: D048002E 0002FB7D
	v_add3_u32 v16, v125, v19, 1                               // 000000005DB0: D1FF0010 0206277D
	v_cndmask_b32_e64 v5, v16, v18, s[46:47]                   // 000000005DB8: D1000005 00BA2510
	v_perm_b32 v98, v5, v4, s52                                // 000000005DC0: D1ED0062 00D20905
	v_cmp_u_f32_e64 s[46:47], v126, v126                       // 000000005DC8: D048002E 0002FD7E
	v_add3_u32 v16, v126, v19, 1                               // 000000005DD0: D1FF0010 0206277E
	v_cndmask_b32_e64 v4, v16, v18, s[46:47]                   // 000000005DD8: D1000004 00BA2510
	v_cmp_u_f32_e64 s[46:47], v127, v127                       // 000000005DE0: D048002E 0002FF7F
	v_add3_u32 v16, v127, v19, 1                               // 000000005DE8: D1FF0010 0206277F
	v_cndmask_b32_e64 v5, v16, v18, s[46:47]                   // 000000005DF0: D1000005 00BA2510
	v_perm_b32 v99, v5, v4, s52                                // 000000005DF8: D1ED0063 00D20905
	ds_write_b64 v20, v[72:73]                                 // 000000005E00: D89A0000 00004814
	ds_write_b64 v20, v[74:75] offset:4352                     // 000000005E08: D89A1100 00004A14
	ds_write_b64 v20, v[76:77] offset:8704                     // 000000005E10: D89A2200 00004C14
	ds_write_b64 v20, v[78:79] offset:13056                    // 000000005E18: D89A3300 00004E14
	ds_write_b64 v20, v[80:81] offset:17408                    // 000000005E20: D89A4400 00005014
	ds_write_b64 v20, v[82:83] offset:21760                    // 000000005E28: D89A5500 00005214
	ds_write_b64 v20, v[84:85] offset:26112                    // 000000005E30: D89A6600 00005414
	ds_write_b64 v20, v[86:87] offset:2176                     // 000000005E38: D89A0880 00005614
	ds_write_b64 v20, v[88:89] offset:6528                     // 000000005E40: D89A1980 00005814
	ds_write_b64 v20, v[90:91] offset:10880                    // 000000005E48: D89A2A80 00005A14
	ds_write_b64 v20, v[92:93] offset:15232                    // 000000005E50: D89A3B80 00005C14
	ds_write_b64 v20, v[94:95] offset:19584                    // 000000005E58: D89A4C80 00005E14
	ds_write_b64 v20, v[96:97] offset:23936                    // 000000005E60: D89A5D80 00006014
	ds_write_b64 v20, v[98:99] offset:28288                    // 000000005E68: D89A6E80 00006214
	v_lshrrev_b32_e32 v4, 5, v0                                // 000000005E70: 20080085
	v_xor_b32_e32 v5, 1, v4                                    // 000000005E74: 2A0A0881
	s_mul_i32 s60, s65, 2                                      // 000000005E78: 923C8241
	s_cmp_eq_u32 s88, 0                                        // 000000005E7C: BF068058
	s_cselect_b32 s61, 1, 4                                    // 000000005E80: 853D8481
	s_mul_i32 s60, s61, s60                                    // 000000005E84: 923C3C3D
	v_readlane_b32 s82, v3, 0                                  // 000000005E88: D2890052 00010103
	s_lshr_b32 s61, s82, 24                                    // 000000005E90: 8F3D9852
	s_and_b32 s82, s82, 0xffffff                               // 000000005E94: 8652FF52 00FFFFFF
	s_mul_i32 s82, s82, s71                                    // 000000005E9C: 92524752
	s_mul_i32 s61, s60, s61                                    // 000000005EA0: 923D3D3C
	s_add_u32 s82, s82, s61                                    // 000000005EA4: 80523D52
	v_mul_lo_u32 v6, v5, s82                                   // 000000005EA8: D2850006 0000A505
	v_readlane_b32 s82, v3, 1                                  // 000000005EB0: D2890052 00010303
	s_lshr_b32 s61, s82, 24                                    // 000000005EB8: 8F3D9852
	s_and_b32 s82, s82, 0xffffff                               // 000000005EBC: 8652FF52 00FFFFFF
	s_mul_i32 s82, s82, s71                                    // 000000005EC4: 92524752
	s_mul_i32 s61, s60, s61                                    // 000000005EC8: 923D3D3C
	s_add_u32 s82, s82, s61                                    // 000000005ECC: 80523D52
	v_mul_lo_u32 v7, v4, s82                                   // 000000005ED0: D2850007 0000A504
	v_add_u32_e32 v56, v6, v7                                  // 000000005ED8: 68700F06
	v_readlane_b32 s82, v3, 2                                  // 000000005EDC: D2890052 00010503
	s_lshr_b32 s61, s82, 24                                    // 000000005EE4: 8F3D9852
	s_and_b32 s82, s82, 0xffffff                               // 000000005EE8: 8652FF52 00FFFFFF
	s_mul_i32 s82, s82, s71                                    // 000000005EF0: 92524752
	s_mul_i32 s61, s60, s61                                    // 000000005EF4: 923D3D3C
	s_add_u32 s82, s82, s61                                    // 000000005EF8: 80523D52
	v_mul_lo_u32 v6, v5, s82                                   // 000000005EFC: D2850006 0000A505
	v_readlane_b32 s82, v3, 3                                  // 000000005F04: D2890052 00010703
	s_lshr_b32 s61, s82, 24                                    // 000000005F0C: 8F3D9852
	s_and_b32 s82, s82, 0xffffff                               // 000000005F10: 8652FF52 00FFFFFF
	s_mul_i32 s82, s82, s71                                    // 000000005F18: 92524752
	s_mul_i32 s61, s60, s61                                    // 000000005F1C: 923D3D3C
	s_add_u32 s82, s82, s61                                    // 000000005F20: 80523D52
	v_mul_lo_u32 v7, v4, s82                                   // 000000005F24: D2850007 0000A504
	v_add_u32_e32 v57, v6, v7                                  // 000000005F2C: 68720F06
	v_readlane_b32 s82, v3, 4                                  // 000000005F30: D2890052 00010903
	s_lshr_b32 s61, s82, 24                                    // 000000005F38: 8F3D9852
	s_and_b32 s82, s82, 0xffffff                               // 000000005F3C: 8652FF52 00FFFFFF
	s_mul_i32 s82, s82, s71                                    // 000000005F44: 92524752
	s_mul_i32 s61, s60, s61                                    // 000000005F48: 923D3D3C
	s_add_u32 s82, s82, s61                                    // 000000005F4C: 80523D52
	v_mul_lo_u32 v6, v5, s82                                   // 000000005F50: D2850006 0000A505
	v_readlane_b32 s82, v3, 5                                  // 000000005F58: D2890052 00010B03
	s_lshr_b32 s61, s82, 24                                    // 000000005F60: 8F3D9852
	s_and_b32 s82, s82, 0xffffff                               // 000000005F64: 8652FF52 00FFFFFF
	s_mul_i32 s82, s82, s71                                    // 000000005F6C: 92524752
	s_mul_i32 s61, s60, s61                                    // 000000005F70: 923D3D3C
	s_add_u32 s82, s82, s61                                    // 000000005F74: 80523D52
	v_mul_lo_u32 v7, v4, s82                                   // 000000005F78: D2850007 0000A504
	v_add_u32_e32 v58, v6, v7                                  // 000000005F80: 68740F06
	v_readlane_b32 s82, v3, 6                                  // 000000005F84: D2890052 00010D03
	s_lshr_b32 s61, s82, 24                                    // 000000005F8C: 8F3D9852
	s_and_b32 s82, s82, 0xffffff                               // 000000005F90: 8652FF52 00FFFFFF
	s_mul_i32 s82, s82, s71                                    // 000000005F98: 92524752
	s_mul_i32 s61, s60, s61                                    // 000000005F9C: 923D3D3C
	s_add_u32 s82, s82, s61                                    // 000000005FA0: 80523D52
	v_mul_lo_u32 v6, v5, s82                                   // 000000005FA4: D2850006 0000A505
	v_readlane_b32 s82, v3, 7                                  // 000000005FAC: D2890052 00010F03
	s_lshr_b32 s61, s82, 24                                    // 000000005FB4: 8F3D9852
	s_and_b32 s82, s82, 0xffffff                               // 000000005FB8: 8652FF52 00FFFFFF
	s_mul_i32 s82, s82, s71                                    // 000000005FC0: 92524752
	s_mul_i32 s61, s60, s61                                    // 000000005FC4: 923D3D3C
	s_add_u32 s82, s82, s61                                    // 000000005FC8: 80523D52
	v_mul_lo_u32 v7, v4, s82                                   // 000000005FCC: D2850007 0000A504
	v_add_u32_e32 v59, v6, v7                                  // 000000005FD4: 68760F06
	v_readlane_b32 s82, v3, 8                                  // 000000005FD8: D2890052 00011103
	s_lshr_b32 s61, s82, 24                                    // 000000005FE0: 8F3D9852
	s_and_b32 s82, s82, 0xffffff                               // 000000005FE4: 8652FF52 00FFFFFF
	s_mul_i32 s82, s82, s71                                    // 000000005FEC: 92524752
	s_mul_i32 s61, s60, s61                                    // 000000005FF0: 923D3D3C
	s_add_u32 s82, s82, s61                                    // 000000005FF4: 80523D52
	v_mul_lo_u32 v6, v5, s82                                   // 000000005FF8: D2850006 0000A505
	v_readlane_b32 s82, v3, 9                                  // 000000006000: D2890052 00011303
	s_lshr_b32 s61, s82, 24                                    // 000000006008: 8F3D9852
	s_and_b32 s82, s82, 0xffffff                               // 00000000600C: 8652FF52 00FFFFFF
	s_mul_i32 s82, s82, s71                                    // 000000006014: 92524752
	s_mul_i32 s61, s60, s61                                    // 000000006018: 923D3D3C
	s_add_u32 s82, s82, s61                                    // 00000000601C: 80523D52
	v_mul_lo_u32 v7, v4, s82                                   // 000000006020: D2850007 0000A504
	v_add_u32_e32 v60, v6, v7                                  // 000000006028: 68780F06
	v_readlane_b32 s82, v3, 10                                 // 00000000602C: D2890052 00011503
	s_lshr_b32 s61, s82, 24                                    // 000000006034: 8F3D9852
	s_and_b32 s82, s82, 0xffffff                               // 000000006038: 8652FF52 00FFFFFF
	s_mul_i32 s82, s82, s71                                    // 000000006040: 92524752
	s_mul_i32 s61, s60, s61                                    // 000000006044: 923D3D3C
	s_add_u32 s82, s82, s61                                    // 000000006048: 80523D52
	v_mul_lo_u32 v6, v5, s82                                   // 00000000604C: D2850006 0000A505
	v_readlane_b32 s82, v3, 11                                 // 000000006054: D2890052 00011703
	s_lshr_b32 s61, s82, 24                                    // 00000000605C: 8F3D9852
	s_and_b32 s82, s82, 0xffffff                               // 000000006060: 8652FF52 00FFFFFF
	s_mul_i32 s82, s82, s71                                    // 000000006068: 92524752
	s_mul_i32 s61, s60, s61                                    // 00000000606C: 923D3D3C
	s_add_u32 s82, s82, s61                                    // 000000006070: 80523D52
	v_mul_lo_u32 v7, v4, s82                                   // 000000006074: D2850007 0000A504
	v_add_u32_e32 v61, v6, v7                                  // 00000000607C: 687A0F06
	v_readlane_b32 s82, v3, 12                                 // 000000006080: D2890052 00011903
	s_lshr_b32 s61, s82, 24                                    // 000000006088: 8F3D9852
	s_and_b32 s82, s82, 0xffffff                               // 00000000608C: 8652FF52 00FFFFFF
	s_mul_i32 s82, s82, s71                                    // 000000006094: 92524752
	s_mul_i32 s61, s60, s61                                    // 000000006098: 923D3D3C
	s_add_u32 s82, s82, s61                                    // 00000000609C: 80523D52
	v_mul_lo_u32 v6, v5, s82                                   // 0000000060A0: D2850006 0000A505
	v_readlane_b32 s82, v3, 13                                 // 0000000060A8: D2890052 00011B03
	s_lshr_b32 s61, s82, 24                                    // 0000000060B0: 8F3D9852
	s_and_b32 s82, s82, 0xffffff                               // 0000000060B4: 8652FF52 00FFFFFF
	s_mul_i32 s82, s82, s71                                    // 0000000060BC: 92524752
	s_mul_i32 s61, s60, s61                                    // 0000000060C0: 923D3D3C
	s_add_u32 s82, s82, s61                                    // 0000000060C4: 80523D52
	v_mul_lo_u32 v7, v4, s82                                   // 0000000060C8: D2850007 0000A504
	v_add_u32_e32 v62, v6, v7                                  // 0000000060D0: 687C0F06
	v_readlane_b32 s82, v3, 14                                 // 0000000060D4: D2890052 00011D03
	s_lshr_b32 s61, s82, 24                                    // 0000000060DC: 8F3D9852
	s_and_b32 s82, s82, 0xffffff                               // 0000000060E0: 8652FF52 00FFFFFF
	s_mul_i32 s82, s82, s71                                    // 0000000060E8: 92524752
	s_mul_i32 s61, s60, s61                                    // 0000000060EC: 923D3D3C
	s_add_u32 s82, s82, s61                                    // 0000000060F0: 80523D52
	v_mul_lo_u32 v6, v5, s82                                   // 0000000060F4: D2850006 0000A505
	v_readlane_b32 s82, v3, 15                                 // 0000000060FC: D2890052 00011F03
	s_lshr_b32 s61, s82, 24                                    // 000000006104: 8F3D9852
	s_and_b32 s82, s82, 0xffffff                               // 000000006108: 8652FF52 00FFFFFF
	s_mul_i32 s82, s82, s71                                    // 000000006110: 92524752
	s_mul_i32 s61, s60, s61                                    // 000000006114: 923D3D3C
	s_add_u32 s82, s82, s61                                    // 000000006118: 80523D52
	v_mul_lo_u32 v7, v4, s82                                   // 00000000611C: D2850007 0000A504
	v_add_u32_e32 v63, v6, v7                                  // 000000006124: 687E0F06
	v_readlane_b32 s82, v3, 16                                 // 000000006128: D2890052 00012103
	s_lshr_b32 s61, s82, 24                                    // 000000006130: 8F3D9852
	s_and_b32 s82, s82, 0xffffff                               // 000000006134: 8652FF52 00FFFFFF
	s_mul_i32 s82, s82, s71                                    // 00000000613C: 92524752
	s_mul_i32 s61, s60, s61                                    // 000000006140: 923D3D3C
	s_add_u32 s82, s82, s61                                    // 000000006144: 80523D52
	v_mul_lo_u32 v6, v5, s82                                   // 000000006148: D2850006 0000A505
	v_readlane_b32 s82, v3, 17                                 // 000000006150: D2890052 00012303
	s_lshr_b32 s61, s82, 24                                    // 000000006158: 8F3D9852
	s_and_b32 s82, s82, 0xffffff                               // 00000000615C: 8652FF52 00FFFFFF
	s_mul_i32 s82, s82, s71                                    // 000000006164: 92524752
	s_mul_i32 s61, s60, s61                                    // 000000006168: 923D3D3C
	s_add_u32 s82, s82, s61                                    // 00000000616C: 80523D52
	v_mul_lo_u32 v7, v4, s82                                   // 000000006170: D2850007 0000A504
	v_add_u32_e32 v64, v6, v7                                  // 000000006178: 68800F06
	v_readlane_b32 s82, v3, 18                                 // 00000000617C: D2890052 00012503
	s_lshr_b32 s61, s82, 24                                    // 000000006184: 8F3D9852
	s_and_b32 s82, s82, 0xffffff                               // 000000006188: 8652FF52 00FFFFFF
	s_mul_i32 s82, s82, s71                                    // 000000006190: 92524752
	s_mul_i32 s61, s60, s61                                    // 000000006194: 923D3D3C
	s_add_u32 s82, s82, s61                                    // 000000006198: 80523D52
	v_mul_lo_u32 v6, v5, s82                                   // 00000000619C: D2850006 0000A505
	v_readlane_b32 s82, v3, 19                                 // 0000000061A4: D2890052 00012703
	s_lshr_b32 s61, s82, 24                                    // 0000000061AC: 8F3D9852
	s_and_b32 s82, s82, 0xffffff                               // 0000000061B0: 8652FF52 00FFFFFF
	s_mul_i32 s82, s82, s71                                    // 0000000061B8: 92524752
	s_mul_i32 s61, s60, s61                                    // 0000000061BC: 923D3D3C
	s_add_u32 s82, s82, s61                                    // 0000000061C0: 80523D52
	v_mul_lo_u32 v7, v4, s82                                   // 0000000061C4: D2850007 0000A504
	v_add_u32_e32 v65, v6, v7                                  // 0000000061CC: 68820F06
	v_readlane_b32 s82, v3, 20                                 // 0000000061D0: D2890052 00012903
	s_lshr_b32 s61, s82, 24                                    // 0000000061D8: 8F3D9852
	s_and_b32 s82, s82, 0xffffff                               // 0000000061DC: 8652FF52 00FFFFFF
	s_mul_i32 s82, s82, s71                                    // 0000000061E4: 92524752
	s_mul_i32 s61, s60, s61                                    // 0000000061E8: 923D3D3C
	s_add_u32 s82, s82, s61                                    // 0000000061EC: 80523D52
	v_mul_lo_u32 v6, v5, s82                                   // 0000000061F0: D2850006 0000A505
	v_readlane_b32 s82, v3, 21                                 // 0000000061F8: D2890052 00012B03
	s_lshr_b32 s61, s82, 24                                    // 000000006200: 8F3D9852
	s_and_b32 s82, s82, 0xffffff                               // 000000006204: 8652FF52 00FFFFFF
	s_mul_i32 s82, s82, s71                                    // 00000000620C: 92524752
	s_mul_i32 s61, s60, s61                                    // 000000006210: 923D3D3C
	s_add_u32 s82, s82, s61                                    // 000000006214: 80523D52
	v_mul_lo_u32 v7, v4, s82                                   // 000000006218: D2850007 0000A504
	v_add_u32_e32 v66, v6, v7                                  // 000000006220: 68840F06
	v_readlane_b32 s82, v3, 22                                 // 000000006224: D2890052 00012D03
	s_lshr_b32 s61, s82, 24                                    // 00000000622C: 8F3D9852
	s_and_b32 s82, s82, 0xffffff                               // 000000006230: 8652FF52 00FFFFFF
	s_mul_i32 s82, s82, s71                                    // 000000006238: 92524752
	s_mul_i32 s61, s60, s61                                    // 00000000623C: 923D3D3C
	s_add_u32 s82, s82, s61                                    // 000000006240: 80523D52
	v_mul_lo_u32 v6, v5, s82                                   // 000000006244: D2850006 0000A505
	v_readlane_b32 s82, v3, 23                                 // 00000000624C: D2890052 00012F03
	s_lshr_b32 s61, s82, 24                                    // 000000006254: 8F3D9852
	s_and_b32 s82, s82, 0xffffff                               // 000000006258: 8652FF52 00FFFFFF
	s_mul_i32 s82, s82, s71                                    // 000000006260: 92524752
	s_mul_i32 s61, s60, s61                                    // 000000006264: 923D3D3C
	s_add_u32 s82, s82, s61                                    // 000000006268: 80523D52
	v_mul_lo_u32 v7, v4, s82                                   // 00000000626C: D2850007 0000A504
	v_add_u32_e32 v67, v6, v7                                  // 000000006274: 68860F06
	v_readlane_b32 s82, v3, 24                                 // 000000006278: D2890052 00013103
	s_lshr_b32 s61, s82, 24                                    // 000000006280: 8F3D9852
	s_and_b32 s82, s82, 0xffffff                               // 000000006284: 8652FF52 00FFFFFF
	s_mul_i32 s82, s82, s71                                    // 00000000628C: 92524752
	s_mul_i32 s61, s60, s61                                    // 000000006290: 923D3D3C
	s_add_u32 s82, s82, s61                                    // 000000006294: 80523D52
	v_mul_lo_u32 v6, v5, s82                                   // 000000006298: D2850006 0000A505
	v_readlane_b32 s82, v3, 25                                 // 0000000062A0: D2890052 00013303
	s_lshr_b32 s61, s82, 24                                    // 0000000062A8: 8F3D9852
	s_and_b32 s82, s82, 0xffffff                               // 0000000062AC: 8652FF52 00FFFFFF
	s_mul_i32 s82, s82, s71                                    // 0000000062B4: 92524752
	s_mul_i32 s61, s60, s61                                    // 0000000062B8: 923D3D3C
	s_add_u32 s82, s82, s61                                    // 0000000062BC: 80523D52
	v_mul_lo_u32 v7, v4, s82                                   // 0000000062C0: D2850007 0000A504
	v_add_u32_e32 v68, v6, v7                                  // 0000000062C8: 68880F06
	v_readlane_b32 s82, v3, 26                                 // 0000000062CC: D2890052 00013503
	s_lshr_b32 s61, s82, 24                                    // 0000000062D4: 8F3D9852
	s_and_b32 s82, s82, 0xffffff                               // 0000000062D8: 8652FF52 00FFFFFF
	s_mul_i32 s82, s82, s71                                    // 0000000062E0: 92524752
	s_mul_i32 s61, s60, s61                                    // 0000000062E4: 923D3D3C
	s_add_u32 s82, s82, s61                                    // 0000000062E8: 80523D52
	v_mul_lo_u32 v6, v5, s82                                   // 0000000062EC: D2850006 0000A505
	v_readlane_b32 s82, v3, 27                                 // 0000000062F4: D2890052 00013703
	s_lshr_b32 s61, s82, 24                                    // 0000000062FC: 8F3D9852
	s_and_b32 s82, s82, 0xffffff                               // 000000006300: 8652FF52 00FFFFFF
	s_mul_i32 s82, s82, s71                                    // 000000006308: 92524752
	s_mul_i32 s61, s60, s61                                    // 00000000630C: 923D3D3C
	s_add_u32 s82, s82, s61                                    // 000000006310: 80523D52
	v_mul_lo_u32 v7, v4, s82                                   // 000000006314: D2850007 0000A504
	v_add_u32_e32 v69, v6, v7                                  // 00000000631C: 688A0F06
	v_and_b32_e32 v4, 31, v0                                   // 000000006320: 2608009F
	v_lshrrev_b32_e32 v4, 1, v4                                // 000000006324: 20080881
	s_cmp_eq_u32 s88, 0                                        // 000000006328: BF068058
	s_cselect_b32 s61, 2, 4                                    // 00000000632C: 853D8482
	v_mul_lo_u32 v4, v4, s61                                   // 000000006330: D2850004 00007B04
	v_and_b32_e64 v5, v0, 1                                    // 000000006338: D1130005 00010300
	v_add_u32_e32 v4, v4, v5                                   // 000000006340: 68080B04
	v_lshlrev_b32_e32 v4, 2, v4                                // 000000006344: 24080882
	v_add_u32_e32 v56, v56, v4                                 // 000000006348: 68700938
	v_add_u32_e32 v57, v57, v4                                 // 00000000634C: 68720939
	v_add_u32_e32 v58, v58, v4                                 // 000000006350: 6874093A
	v_add_u32_e32 v59, v59, v4                                 // 000000006354: 6876093B
	v_add_u32_e32 v60, v60, v4                                 // 000000006358: 6878093C
	v_add_u32_e32 v61, v61, v4                                 // 00000000635C: 687A093D
	v_add_u32_e32 v62, v62, v4                                 // 000000006360: 687C093E
	v_add_u32_e32 v63, v63, v4                                 // 000000006364: 687E093F
	v_add_u32_e32 v64, v64, v4                                 // 000000006368: 68800940
	v_add_u32_e32 v65, v65, v4                                 // 00000000636C: 68820941
	v_add_u32_e32 v66, v66, v4                                 // 000000006370: 68840942
	v_add_u32_e32 v67, v67, v4                                 // 000000006374: 68860943
	;; [unrolled: 1-line block ×3, first 2 shown]
	v_add_u32_e32 v69, v69, v4                                 // 00000000637C: 688A0945
	s_waitcnt lgkmcnt(0)                                       // 000000006380: BF8CC07F
	s_barrier                                                  // 000000006384: BF8A0000
	ds_read_b32 v72, v21                                       // 000000006388: D86C0000 48000015
	ds_read_b32 v73, v21 offset:64                             // 000000006390: D86C0040 49000015
	ds_read_b32 v74, v21 offset:2176                           // 000000006398: D86C0880 4A000015
	ds_read_b32 v75, v21 offset:2240                           // 0000000063A0: D86C08C0 4B000015
	ds_read_b32 v76, v21 offset:4352                           // 0000000063A8: D86C1100 4C000015
	ds_read_b32 v77, v21 offset:4416                           // 0000000063B0: D86C1140 4D000015
	ds_read_b32 v78, v21 offset:6528                           // 0000000063B8: D86C1980 4E000015
	ds_read_b32 v79, v21 offset:6592                           // 0000000063C0: D86C19C0 4F000015
	ds_read_b32 v80, v21 offset:8704                           // 0000000063C8: D86C2200 50000015
	ds_read_b32 v81, v21 offset:8768                           // 0000000063D0: D86C2240 51000015
	ds_read_b32 v82, v21 offset:10880                          // 0000000063D8: D86C2A80 52000015
	ds_read_b32 v83, v21 offset:10944                          // 0000000063E0: D86C2AC0 53000015
	ds_read_b32 v84, v21 offset:13056                          // 0000000063E8: D86C3300 54000015
	ds_read_b32 v85, v21 offset:13120                          // 0000000063F0: D86C3340 55000015
	ds_read_b32 v86, v21 offset:15232                          // 0000000063F8: D86C3B80 56000015
	ds_read_b32 v87, v21 offset:15296                          // 000000006400: D86C3BC0 57000015
	ds_read_b32 v88, v21 offset:17408                          // 000000006408: D86C4400 58000015
	ds_read_b32 v89, v21 offset:17472                          // 000000006410: D86C4440 59000015
	ds_read_b32 v90, v21 offset:19584                          // 000000006418: D86C4C80 5A000015
	ds_read_b32 v91, v21 offset:19648                          // 000000006420: D86C4CC0 5B000015
	ds_read_b32 v92, v21 offset:21760                          // 000000006428: D86C5500 5C000015
	ds_read_b32 v93, v21 offset:21824                          // 000000006430: D86C5540 5D000015
	ds_read_b32 v94, v21 offset:23936                          // 000000006438: D86C5D80 5E000015
	ds_read_b32 v95, v21 offset:24000                          // 000000006440: D86C5DC0 5F000015
	ds_read_b32 v96, v21 offset:26112                          // 000000006448: D86C6600 60000015
	ds_read_b32 v97, v21 offset:26176                          // 000000006450: D86C6640 61000015
	ds_read_b32 v98, v21 offset:28288                          // 000000006458: D86C6E80 62000015
	ds_read_b32 v99, v21 offset:28352                          // 000000006460: D86C6EC0 63000015
	s_waitcnt lgkmcnt(0)                                       // 000000006468: BF8CC07F
	s_mov_b32 s36, -1                                          // 00000000646C: BEA400C1
	s_mov_b32 s37, -1                                          // 000000006470: BEA500C1
	v_mov_b32_e32 v7, 0                                        // 000000006474: 7E0E0280
	s_or_b32 s9, s9, 0x40000                                   // 000000006478: 8709FF09 00040000
	s_mov_b64 exec, s[36:37]                                   // 000000006480: BEFE0124
	v_mov_b32_e32 v6, v56                                      // 000000006484: 7E0C0338
	s_mov_b64 s[60:61], 0                                      // 000000006488: BEBC0180
	v_readlane_b32 s82, v3, 0                                  // 00000000648C: D2890052 00010103
	s_and_b32 s82, s82, 0xffffff                               // 000000006494: 8652FF52 00FFFFFF
	s_cmp_lt_u32 s82, s66                                      // 00000000649C: BF0A4252
	s_cselect_b32 s20, s36, s60                                // 0000000064A0: 85143C24
	v_readlane_b32 s82, v3, 1                                  // 0000000064A4: D2890052 00010303
	s_and_b32 s82, s82, 0xffffff                               // 0000000064AC: 8652FF52 00FFFFFF
	s_cmp_lt_u32 s82, s66                                      // 0000000064B4: BF0A4252
	s_cselect_b32 s21, s36, s60                                // 0000000064B8: 85153C24
	s_mov_b64 exec, s[20:21]                                   // 0000000064BC: BEFE0114
	buffer_store_dword v72, v6, s[8:11], 0 offen               // 0000000064C0: E0701000 80024806
	buffer_store_dword v74, v6, s[8:11], 0 offen offset:128    // 0000000064C8: E0701080 80024A06
	s_mov_b64 exec, s[36:37]                                   // 0000000064D0: BEFE0124
	v_mov_b32_e32 v6, v57                                      // 0000000064D4: 7E0C0339
	s_mov_b64 s[60:61], 0                                      // 0000000064D8: BEBC0180
	v_readlane_b32 s82, v3, 2                                  // 0000000064DC: D2890052 00010503
	s_and_b32 s82, s82, 0xffffff                               // 0000000064E4: 8652FF52 00FFFFFF
	s_cmp_lt_u32 s82, s66                                      // 0000000064EC: BF0A4252
	s_cselect_b32 s20, s36, s60                                // 0000000064F0: 85143C24
	v_readlane_b32 s82, v3, 3                                  // 0000000064F4: D2890052 00010703
	s_and_b32 s82, s82, 0xffffff                               // 0000000064FC: 8652FF52 00FFFFFF
	s_cmp_lt_u32 s82, s66                                      // 000000006504: BF0A4252
	s_cselect_b32 s21, s36, s60                                // 000000006508: 85153C24
	s_mov_b64 exec, s[20:21]                                   // 00000000650C: BEFE0114
	buffer_store_dword v73, v6, s[8:11], 0 offen               // 000000006510: E0701000 80024906
	buffer_store_dword v75, v6, s[8:11], 0 offen offset:128    // 000000006518: E0701080 80024B06
	s_mov_b64 exec, s[36:37]                                   // 000000006520: BEFE0124
	v_mov_b32_e32 v6, v58                                      // 000000006524: 7E0C033A
	s_mov_b64 s[60:61], 0                                      // 000000006528: BEBC0180
	v_readlane_b32 s82, v3, 4                                  // 00000000652C: D2890052 00010903
	s_and_b32 s82, s82, 0xffffff                               // 000000006534: 8652FF52 00FFFFFF
	s_cmp_lt_u32 s82, s66                                      // 00000000653C: BF0A4252
	s_cselect_b32 s20, s36, s60                                // 000000006540: 85143C24
	v_readlane_b32 s82, v3, 5                                  // 000000006544: D2890052 00010B03
	s_and_b32 s82, s82, 0xffffff                               // 00000000654C: 8652FF52 00FFFFFF
	s_cmp_lt_u32 s82, s66                                      // 000000006554: BF0A4252
	s_cselect_b32 s21, s36, s60                                // 000000006558: 85153C24
	s_mov_b64 exec, s[20:21]                                   // 00000000655C: BEFE0114
	buffer_store_dword v76, v6, s[8:11], 0 offen               // 000000006560: E0701000 80024C06
	buffer_store_dword v78, v6, s[8:11], 0 offen offset:128    // 000000006568: E0701080 80024E06
	s_mov_b64 exec, s[36:37]                                   // 000000006570: BEFE0124
	v_mov_b32_e32 v6, v59                                      // 000000006574: 7E0C033B
	s_mov_b64 s[60:61], 0                                      // 000000006578: BEBC0180
	v_readlane_b32 s82, v3, 6                                  // 00000000657C: D2890052 00010D03
	s_and_b32 s82, s82, 0xffffff                               // 000000006584: 8652FF52 00FFFFFF
	s_cmp_lt_u32 s82, s66                                      // 00000000658C: BF0A4252
	s_cselect_b32 s20, s36, s60                                // 000000006590: 85143C24
	v_readlane_b32 s82, v3, 7                                  // 000000006594: D2890052 00010F03
	s_and_b32 s82, s82, 0xffffff                               // 00000000659C: 8652FF52 00FFFFFF
	s_cmp_lt_u32 s82, s66                                      // 0000000065A4: BF0A4252
	s_cselect_b32 s21, s36, s60                                // 0000000065A8: 85153C24
	s_mov_b64 exec, s[20:21]                                   // 0000000065AC: BEFE0114
	buffer_store_dword v77, v6, s[8:11], 0 offen               // 0000000065B0: E0701000 80024D06
	buffer_store_dword v79, v6, s[8:11], 0 offen offset:128    // 0000000065B8: E0701080 80024F06
	s_mov_b64 exec, s[36:37]                                   // 0000000065C0: BEFE0124
	v_mov_b32_e32 v6, v60                                      // 0000000065C4: 7E0C033C
	s_mov_b64 s[60:61], 0                                      // 0000000065C8: BEBC0180
	v_readlane_b32 s82, v3, 8                                  // 0000000065CC: D2890052 00011103
	s_and_b32 s82, s82, 0xffffff                               // 0000000065D4: 8652FF52 00FFFFFF
	s_cmp_lt_u32 s82, s66                                      // 0000000065DC: BF0A4252
	s_cselect_b32 s20, s36, s60                                // 0000000065E0: 85143C24
	v_readlane_b32 s82, v3, 9                                  // 0000000065E4: D2890052 00011303
	s_and_b32 s82, s82, 0xffffff                               // 0000000065EC: 8652FF52 00FFFFFF
	s_cmp_lt_u32 s82, s66                                      // 0000000065F4: BF0A4252
	s_cselect_b32 s21, s36, s60                                // 0000000065F8: 85153C24
	s_mov_b64 exec, s[20:21]                                   // 0000000065FC: BEFE0114
	buffer_store_dword v80, v6, s[8:11], 0 offen               // 000000006600: E0701000 80025006
	buffer_store_dword v82, v6, s[8:11], 0 offen offset:128    // 000000006608: E0701080 80025206
	s_mov_b64 exec, s[36:37]                                   // 000000006610: BEFE0124
	v_mov_b32_e32 v6, v61                                      // 000000006614: 7E0C033D
	s_mov_b64 s[60:61], 0                                      // 000000006618: BEBC0180
	v_readlane_b32 s82, v3, 10                                 // 00000000661C: D2890052 00011503
	s_and_b32 s82, s82, 0xffffff                               // 000000006624: 8652FF52 00FFFFFF
	s_cmp_lt_u32 s82, s66                                      // 00000000662C: BF0A4252
	s_cselect_b32 s20, s36, s60                                // 000000006630: 85143C24
	v_readlane_b32 s82, v3, 11                                 // 000000006634: D2890052 00011703
	s_and_b32 s82, s82, 0xffffff                               // 00000000663C: 8652FF52 00FFFFFF
	s_cmp_lt_u32 s82, s66                                      // 000000006644: BF0A4252
	s_cselect_b32 s21, s36, s60                                // 000000006648: 85153C24
	s_mov_b64 exec, s[20:21]                                   // 00000000664C: BEFE0114
	buffer_store_dword v81, v6, s[8:11], 0 offen               // 000000006650: E0701000 80025106
	buffer_store_dword v83, v6, s[8:11], 0 offen offset:128    // 000000006658: E0701080 80025306
	s_mov_b64 exec, s[36:37]                                   // 000000006660: BEFE0124
	v_mov_b32_e32 v6, v62                                      // 000000006664: 7E0C033E
	s_mov_b64 s[60:61], 0                                      // 000000006668: BEBC0180
	v_readlane_b32 s82, v3, 12                                 // 00000000666C: D2890052 00011903
	s_and_b32 s82, s82, 0xffffff                               // 000000006674: 8652FF52 00FFFFFF
	s_cmp_lt_u32 s82, s66                                      // 00000000667C: BF0A4252
	s_cselect_b32 s20, s36, s60                                // 000000006680: 85143C24
	v_readlane_b32 s82, v3, 13                                 // 000000006684: D2890052 00011B03
	s_and_b32 s82, s82, 0xffffff                               // 00000000668C: 8652FF52 00FFFFFF
	s_cmp_lt_u32 s82, s66                                      // 000000006694: BF0A4252
	s_cselect_b32 s21, s36, s60                                // 000000006698: 85153C24
	s_mov_b64 exec, s[20:21]                                   // 00000000669C: BEFE0114
	buffer_store_dword v84, v6, s[8:11], 0 offen               // 0000000066A0: E0701000 80025406
	buffer_store_dword v86, v6, s[8:11], 0 offen offset:128    // 0000000066A8: E0701080 80025606
	s_mov_b64 exec, s[36:37]                                   // 0000000066B0: BEFE0124
	v_mov_b32_e32 v6, v63                                      // 0000000066B4: 7E0C033F
	s_mov_b64 s[60:61], 0                                      // 0000000066B8: BEBC0180
	v_readlane_b32 s82, v3, 14                                 // 0000000066BC: D2890052 00011D03
	s_and_b32 s82, s82, 0xffffff                               // 0000000066C4: 8652FF52 00FFFFFF
	s_cmp_lt_u32 s82, s66                                      // 0000000066CC: BF0A4252
	s_cselect_b32 s20, s36, s60                                // 0000000066D0: 85143C24
	v_readlane_b32 s82, v3, 15                                 // 0000000066D4: D2890052 00011F03
	s_and_b32 s82, s82, 0xffffff                               // 0000000066DC: 8652FF52 00FFFFFF
	s_cmp_lt_u32 s82, s66                                      // 0000000066E4: BF0A4252
	s_cselect_b32 s21, s36, s60                                // 0000000066E8: 85153C24
	s_mov_b64 exec, s[20:21]                                   // 0000000066EC: BEFE0114
	buffer_store_dword v85, v6, s[8:11], 0 offen               // 0000000066F0: E0701000 80025506
	buffer_store_dword v87, v6, s[8:11], 0 offen offset:128    // 0000000066F8: E0701080 80025706
	s_mov_b64 exec, s[36:37]                                   // 000000006700: BEFE0124
	v_mov_b32_e32 v6, v64                                      // 000000006704: 7E0C0340
	s_mov_b64 s[60:61], 0                                      // 000000006708: BEBC0180
	v_readlane_b32 s82, v3, 16                                 // 00000000670C: D2890052 00012103
	s_and_b32 s82, s82, 0xffffff                               // 000000006714: 8652FF52 00FFFFFF
	s_cmp_lt_u32 s82, s66                                      // 00000000671C: BF0A4252
	s_cselect_b32 s20, s36, s60                                // 000000006720: 85143C24
	v_readlane_b32 s82, v3, 17                                 // 000000006724: D2890052 00012303
	s_and_b32 s82, s82, 0xffffff                               // 00000000672C: 8652FF52 00FFFFFF
	s_cmp_lt_u32 s82, s66                                      // 000000006734: BF0A4252
	s_cselect_b32 s21, s36, s60                                // 000000006738: 85153C24
	s_mov_b64 exec, s[20:21]                                   // 00000000673C: BEFE0114
	buffer_store_dword v88, v6, s[8:11], 0 offen               // 000000006740: E0701000 80025806
	buffer_store_dword v90, v6, s[8:11], 0 offen offset:128    // 000000006748: E0701080 80025A06
	s_mov_b64 exec, s[36:37]                                   // 000000006750: BEFE0124
	v_mov_b32_e32 v6, v65                                      // 000000006754: 7E0C0341
	s_mov_b64 s[60:61], 0                                      // 000000006758: BEBC0180
	v_readlane_b32 s82, v3, 18                                 // 00000000675C: D2890052 00012503
	s_and_b32 s82, s82, 0xffffff                               // 000000006764: 8652FF52 00FFFFFF
	s_cmp_lt_u32 s82, s66                                      // 00000000676C: BF0A4252
	s_cselect_b32 s20, s36, s60                                // 000000006770: 85143C24
	v_readlane_b32 s82, v3, 19                                 // 000000006774: D2890052 00012703
	s_and_b32 s82, s82, 0xffffff                               // 00000000677C: 8652FF52 00FFFFFF
	s_cmp_lt_u32 s82, s66                                      // 000000006784: BF0A4252
	s_cselect_b32 s21, s36, s60                                // 000000006788: 85153C24
	s_mov_b64 exec, s[20:21]                                   // 00000000678C: BEFE0114
	buffer_store_dword v89, v6, s[8:11], 0 offen               // 000000006790: E0701000 80025906
	buffer_store_dword v91, v6, s[8:11], 0 offen offset:128    // 000000006798: E0701080 80025B06
	s_mov_b64 exec, s[36:37]                                   // 0000000067A0: BEFE0124
	v_mov_b32_e32 v6, v66                                      // 0000000067A4: 7E0C0342
	s_mov_b64 s[60:61], 0                                      // 0000000067A8: BEBC0180
	v_readlane_b32 s82, v3, 20                                 // 0000000067AC: D2890052 00012903
	s_and_b32 s82, s82, 0xffffff                               // 0000000067B4: 8652FF52 00FFFFFF
	s_cmp_lt_u32 s82, s66                                      // 0000000067BC: BF0A4252
	s_cselect_b32 s20, s36, s60                                // 0000000067C0: 85143C24
	v_readlane_b32 s82, v3, 21                                 // 0000000067C4: D2890052 00012B03
	s_and_b32 s82, s82, 0xffffff                               // 0000000067CC: 8652FF52 00FFFFFF
	s_cmp_lt_u32 s82, s66                                      // 0000000067D4: BF0A4252
	s_cselect_b32 s21, s36, s60                                // 0000000067D8: 85153C24
	s_mov_b64 exec, s[20:21]                                   // 0000000067DC: BEFE0114
	buffer_store_dword v92, v6, s[8:11], 0 offen               // 0000000067E0: E0701000 80025C06
	buffer_store_dword v94, v6, s[8:11], 0 offen offset:128    // 0000000067E8: E0701080 80025E06
	s_mov_b64 exec, s[36:37]                                   // 0000000067F0: BEFE0124
	v_mov_b32_e32 v6, v67                                      // 0000000067F4: 7E0C0343
	s_mov_b64 s[60:61], 0                                      // 0000000067F8: BEBC0180
	v_readlane_b32 s82, v3, 22                                 // 0000000067FC: D2890052 00012D03
	s_and_b32 s82, s82, 0xffffff                               // 000000006804: 8652FF52 00FFFFFF
	s_cmp_lt_u32 s82, s66                                      // 00000000680C: BF0A4252
	s_cselect_b32 s20, s36, s60                                // 000000006810: 85143C24
	v_readlane_b32 s82, v3, 23                                 // 000000006814: D2890052 00012F03
	s_and_b32 s82, s82, 0xffffff                               // 00000000681C: 8652FF52 00FFFFFF
	s_cmp_lt_u32 s82, s66                                      // 000000006824: BF0A4252
	s_cselect_b32 s21, s36, s60                                // 000000006828: 85153C24
	s_mov_b64 exec, s[20:21]                                   // 00000000682C: BEFE0114
	buffer_store_dword v93, v6, s[8:11], 0 offen               // 000000006830: E0701000 80025D06
	buffer_store_dword v95, v6, s[8:11], 0 offen offset:128    // 000000006838: E0701080 80025F06
	s_mov_b64 exec, s[36:37]                                   // 000000006840: BEFE0124
	v_mov_b32_e32 v6, v68                                      // 000000006844: 7E0C0344
	s_mov_b64 s[60:61], 0                                      // 000000006848: BEBC0180
	v_readlane_b32 s82, v3, 24                                 // 00000000684C: D2890052 00013103
	s_and_b32 s82, s82, 0xffffff                               // 000000006854: 8652FF52 00FFFFFF
	s_cmp_lt_u32 s82, s66                                      // 00000000685C: BF0A4252
	s_cselect_b32 s20, s36, s60                                // 000000006860: 85143C24
	v_readlane_b32 s82, v3, 25                                 // 000000006864: D2890052 00013303
	s_and_b32 s82, s82, 0xffffff                               // 00000000686C: 8652FF52 00FFFFFF
	s_cmp_lt_u32 s82, s66                                      // 000000006874: BF0A4252
	s_cselect_b32 s21, s36, s60                                // 000000006878: 85153C24
	s_mov_b64 exec, s[20:21]                                   // 00000000687C: BEFE0114
	buffer_store_dword v96, v6, s[8:11], 0 offen               // 000000006880: E0701000 80026006
	buffer_store_dword v98, v6, s[8:11], 0 offen offset:128    // 000000006888: E0701080 80026206
	s_mov_b64 exec, s[36:37]                                   // 000000006890: BEFE0124
	v_mov_b32_e32 v6, v69                                      // 000000006894: 7E0C0345
	s_mov_b64 s[60:61], 0                                      // 000000006898: BEBC0180
	v_readlane_b32 s82, v3, 26                                 // 00000000689C: D2890052 00013503
	s_and_b32 s82, s82, 0xffffff                               // 0000000068A4: 8652FF52 00FFFFFF
	s_cmp_lt_u32 s82, s66                                      // 0000000068AC: BF0A4252
	s_cselect_b32 s20, s36, s60                                // 0000000068B0: 85143C24
	v_readlane_b32 s82, v3, 27                                 // 0000000068B4: D2890052 00013703
	s_and_b32 s82, s82, 0xffffff                               // 0000000068BC: 8652FF52 00FFFFFF
	s_cmp_lt_u32 s82, s66                                      // 0000000068C4: BF0A4252
	s_cselect_b32 s21, s36, s60                                // 0000000068C8: 85153C24
	s_mov_b64 exec, s[20:21]                                   // 0000000068CC: BEFE0114
	buffer_store_dword v97, v6, s[8:11], 0 offen               // 0000000068D0: E0701000 80026106
	buffer_store_dword v99, v6, s[8:11], 0 offen offset:128    // 0000000068D8: E0701080 80026306
	s_mov_b64 exec, s[36:37]                                   // 0000000068E0: BEFE0124
	s_branch label_2A32                                        // 0000000068E4: BF821A75

00000000000068e8 <label_0FBA>:
	ds_write_b64 v20, v[72:73]                                 // 0000000068E8: D89A0000 00004814
	ds_write_b64 v20, v[76:77] offset:4352                     // 0000000068F0: D89A1100 00004C14
	ds_write_b64 v20, v[80:81] offset:8704                     // 0000000068F8: D89A2200 00005014
	ds_write_b64 v20, v[84:85] offset:13056                    // 000000006900: D89A3300 00005414
	ds_write_b64 v20, v[88:89] offset:17408                    // 000000006908: D89A4400 00005814
	ds_write_b64 v20, v[92:93] offset:21760                    // 000000006910: D89A5500 00005C14
	ds_write_b64 v20, v[96:97] offset:26112                    // 000000006918: D89A6600 00006014
	ds_write_b64 v20, v[100:101] offset:2176                   // 000000006920: D89A0880 00006414
	ds_write_b64 v20, v[104:105] offset:6528                   // 000000006928: D89A1980 00006814
	ds_write_b64 v20, v[108:109] offset:10880                  // 000000006930: D89A2A80 00006C14
	ds_write_b64 v20, v[112:113] offset:15232                  // 000000006938: D89A3B80 00007014
	ds_write_b64 v20, v[116:117] offset:19584                  // 000000006940: D89A4C80 00007414
	ds_write_b64 v20, v[120:121] offset:23936                  // 000000006948: D89A5D80 00007814
	ds_write_b64 v20, v[124:125] offset:28288                  // 000000006950: D89A6E80 00007C14
	v_lshrrev_b32_e32 v4, 5, v0                                // 000000006958: 20080085
	v_xor_b32_e32 v5, 1, v4                                    // 00000000695C: 2A0A0881
	s_mul_i32 s60, s65, 2                                      // 000000006960: 923C8241
	s_cmp_eq_u32 s88, 0                                        // 000000006964: BF068058
	s_cselect_b32 s61, 1, 4                                    // 000000006968: 853D8481
	s_mul_i32 s60, s61, s60                                    // 00000000696C: 923C3C3D
	v_readlane_b32 s82, v3, 0                                  // 000000006970: D2890052 00010103
	s_lshr_b32 s61, s82, 24                                    // 000000006978: 8F3D9852
	s_and_b32 s82, s82, 0xffffff                               // 00000000697C: 8652FF52 00FFFFFF
	s_mul_i32 s82, s82, s71                                    // 000000006984: 92524752
	s_mul_i32 s61, s60, s61                                    // 000000006988: 923D3D3C
	s_add_u32 s82, s82, s61                                    // 00000000698C: 80523D52
	v_mul_lo_u32 v6, v5, s82                                   // 000000006990: D2850006 0000A505
	v_readlane_b32 s82, v3, 1                                  // 000000006998: D2890052 00010303
	s_lshr_b32 s61, s82, 24                                    // 0000000069A0: 8F3D9852
	s_and_b32 s82, s82, 0xffffff                               // 0000000069A4: 8652FF52 00FFFFFF
	s_mul_i32 s82, s82, s71                                    // 0000000069AC: 92524752
	s_mul_i32 s61, s60, s61                                    // 0000000069B0: 923D3D3C
	s_add_u32 s82, s82, s61                                    // 0000000069B4: 80523D52
	v_mul_lo_u32 v7, v4, s82                                   // 0000000069B8: D2850007 0000A504
	v_add_u32_e32 v56, v6, v7                                  // 0000000069C0: 68700F06
	v_readlane_b32 s82, v3, 2                                  // 0000000069C4: D2890052 00010503
	s_lshr_b32 s61, s82, 24                                    // 0000000069CC: 8F3D9852
	s_and_b32 s82, s82, 0xffffff                               // 0000000069D0: 8652FF52 00FFFFFF
	s_mul_i32 s82, s82, s71                                    // 0000000069D8: 92524752
	s_mul_i32 s61, s60, s61                                    // 0000000069DC: 923D3D3C
	s_add_u32 s82, s82, s61                                    // 0000000069E0: 80523D52
	v_mul_lo_u32 v6, v5, s82                                   // 0000000069E4: D2850006 0000A505
	v_readlane_b32 s82, v3, 3                                  // 0000000069EC: D2890052 00010703
	s_lshr_b32 s61, s82, 24                                    // 0000000069F4: 8F3D9852
	s_and_b32 s82, s82, 0xffffff                               // 0000000069F8: 8652FF52 00FFFFFF
	s_mul_i32 s82, s82, s71                                    // 000000006A00: 92524752
	s_mul_i32 s61, s60, s61                                    // 000000006A04: 923D3D3C
	s_add_u32 s82, s82, s61                                    // 000000006A08: 80523D52
	v_mul_lo_u32 v7, v4, s82                                   // 000000006A0C: D2850007 0000A504
	v_add_u32_e32 v57, v6, v7                                  // 000000006A14: 68720F06
	v_readlane_b32 s82, v3, 4                                  // 000000006A18: D2890052 00010903
	s_lshr_b32 s61, s82, 24                                    // 000000006A20: 8F3D9852
	s_and_b32 s82, s82, 0xffffff                               // 000000006A24: 8652FF52 00FFFFFF
	s_mul_i32 s82, s82, s71                                    // 000000006A2C: 92524752
	s_mul_i32 s61, s60, s61                                    // 000000006A30: 923D3D3C
	s_add_u32 s82, s82, s61                                    // 000000006A34: 80523D52
	v_mul_lo_u32 v6, v5, s82                                   // 000000006A38: D2850006 0000A505
	v_readlane_b32 s82, v3, 5                                  // 000000006A40: D2890052 00010B03
	s_lshr_b32 s61, s82, 24                                    // 000000006A48: 8F3D9852
	s_and_b32 s82, s82, 0xffffff                               // 000000006A4C: 8652FF52 00FFFFFF
	s_mul_i32 s82, s82, s71                                    // 000000006A54: 92524752
	s_mul_i32 s61, s60, s61                                    // 000000006A58: 923D3D3C
	s_add_u32 s82, s82, s61                                    // 000000006A5C: 80523D52
	v_mul_lo_u32 v7, v4, s82                                   // 000000006A60: D2850007 0000A504
	v_add_u32_e32 v58, v6, v7                                  // 000000006A68: 68740F06
	v_readlane_b32 s82, v3, 6                                  // 000000006A6C: D2890052 00010D03
	s_lshr_b32 s61, s82, 24                                    // 000000006A74: 8F3D9852
	s_and_b32 s82, s82, 0xffffff                               // 000000006A78: 8652FF52 00FFFFFF
	s_mul_i32 s82, s82, s71                                    // 000000006A80: 92524752
	s_mul_i32 s61, s60, s61                                    // 000000006A84: 923D3D3C
	s_add_u32 s82, s82, s61                                    // 000000006A88: 80523D52
	v_mul_lo_u32 v6, v5, s82                                   // 000000006A8C: D2850006 0000A505
	v_readlane_b32 s82, v3, 7                                  // 000000006A94: D2890052 00010F03
	s_lshr_b32 s61, s82, 24                                    // 000000006A9C: 8F3D9852
	s_and_b32 s82, s82, 0xffffff                               // 000000006AA0: 8652FF52 00FFFFFF
	s_mul_i32 s82, s82, s71                                    // 000000006AA8: 92524752
	s_mul_i32 s61, s60, s61                                    // 000000006AAC: 923D3D3C
	s_add_u32 s82, s82, s61                                    // 000000006AB0: 80523D52
	v_mul_lo_u32 v7, v4, s82                                   // 000000006AB4: D2850007 0000A504
	v_add_u32_e32 v59, v6, v7                                  // 000000006ABC: 68760F06
	v_readlane_b32 s82, v3, 8                                  // 000000006AC0: D2890052 00011103
	s_lshr_b32 s61, s82, 24                                    // 000000006AC8: 8F3D9852
	s_and_b32 s82, s82, 0xffffff                               // 000000006ACC: 8652FF52 00FFFFFF
	s_mul_i32 s82, s82, s71                                    // 000000006AD4: 92524752
	s_mul_i32 s61, s60, s61                                    // 000000006AD8: 923D3D3C
	s_add_u32 s82, s82, s61                                    // 000000006ADC: 80523D52
	v_mul_lo_u32 v6, v5, s82                                   // 000000006AE0: D2850006 0000A505
	v_readlane_b32 s82, v3, 9                                  // 000000006AE8: D2890052 00011303
	s_lshr_b32 s61, s82, 24                                    // 000000006AF0: 8F3D9852
	s_and_b32 s82, s82, 0xffffff                               // 000000006AF4: 8652FF52 00FFFFFF
	s_mul_i32 s82, s82, s71                                    // 000000006AFC: 92524752
	s_mul_i32 s61, s60, s61                                    // 000000006B00: 923D3D3C
	s_add_u32 s82, s82, s61                                    // 000000006B04: 80523D52
	v_mul_lo_u32 v7, v4, s82                                   // 000000006B08: D2850007 0000A504
	v_add_u32_e32 v60, v6, v7                                  // 000000006B10: 68780F06
	v_readlane_b32 s82, v3, 10                                 // 000000006B14: D2890052 00011503
	s_lshr_b32 s61, s82, 24                                    // 000000006B1C: 8F3D9852
	s_and_b32 s82, s82, 0xffffff                               // 000000006B20: 8652FF52 00FFFFFF
	s_mul_i32 s82, s82, s71                                    // 000000006B28: 92524752
	s_mul_i32 s61, s60, s61                                    // 000000006B2C: 923D3D3C
	s_add_u32 s82, s82, s61                                    // 000000006B30: 80523D52
	v_mul_lo_u32 v6, v5, s82                                   // 000000006B34: D2850006 0000A505
	v_readlane_b32 s82, v3, 11                                 // 000000006B3C: D2890052 00011703
	s_lshr_b32 s61, s82, 24                                    // 000000006B44: 8F3D9852
	s_and_b32 s82, s82, 0xffffff                               // 000000006B48: 8652FF52 00FFFFFF
	s_mul_i32 s82, s82, s71                                    // 000000006B50: 92524752
	s_mul_i32 s61, s60, s61                                    // 000000006B54: 923D3D3C
	s_add_u32 s82, s82, s61                                    // 000000006B58: 80523D52
	v_mul_lo_u32 v7, v4, s82                                   // 000000006B5C: D2850007 0000A504
	v_add_u32_e32 v61, v6, v7                                  // 000000006B64: 687A0F06
	v_readlane_b32 s82, v3, 12                                 // 000000006B68: D2890052 00011903
	s_lshr_b32 s61, s82, 24                                    // 000000006B70: 8F3D9852
	s_and_b32 s82, s82, 0xffffff                               // 000000006B74: 8652FF52 00FFFFFF
	s_mul_i32 s82, s82, s71                                    // 000000006B7C: 92524752
	s_mul_i32 s61, s60, s61                                    // 000000006B80: 923D3D3C
	s_add_u32 s82, s82, s61                                    // 000000006B84: 80523D52
	v_mul_lo_u32 v6, v5, s82                                   // 000000006B88: D2850006 0000A505
	v_readlane_b32 s82, v3, 13                                 // 000000006B90: D2890052 00011B03
	s_lshr_b32 s61, s82, 24                                    // 000000006B98: 8F3D9852
	s_and_b32 s82, s82, 0xffffff                               // 000000006B9C: 8652FF52 00FFFFFF
	s_mul_i32 s82, s82, s71                                    // 000000006BA4: 92524752
	s_mul_i32 s61, s60, s61                                    // 000000006BA8: 923D3D3C
	s_add_u32 s82, s82, s61                                    // 000000006BAC: 80523D52
	v_mul_lo_u32 v7, v4, s82                                   // 000000006BB0: D2850007 0000A504
	v_add_u32_e32 v62, v6, v7                                  // 000000006BB8: 687C0F06
	v_readlane_b32 s82, v3, 14                                 // 000000006BBC: D2890052 00011D03
	s_lshr_b32 s61, s82, 24                                    // 000000006BC4: 8F3D9852
	s_and_b32 s82, s82, 0xffffff                               // 000000006BC8: 8652FF52 00FFFFFF
	s_mul_i32 s82, s82, s71                                    // 000000006BD0: 92524752
	s_mul_i32 s61, s60, s61                                    // 000000006BD4: 923D3D3C
	s_add_u32 s82, s82, s61                                    // 000000006BD8: 80523D52
	v_mul_lo_u32 v6, v5, s82                                   // 000000006BDC: D2850006 0000A505
	v_readlane_b32 s82, v3, 15                                 // 000000006BE4: D2890052 00011F03
	s_lshr_b32 s61, s82, 24                                    // 000000006BEC: 8F3D9852
	s_and_b32 s82, s82, 0xffffff                               // 000000006BF0: 8652FF52 00FFFFFF
	s_mul_i32 s82, s82, s71                                    // 000000006BF8: 92524752
	s_mul_i32 s61, s60, s61                                    // 000000006BFC: 923D3D3C
	s_add_u32 s82, s82, s61                                    // 000000006C00: 80523D52
	v_mul_lo_u32 v7, v4, s82                                   // 000000006C04: D2850007 0000A504
	v_add_u32_e32 v63, v6, v7                                  // 000000006C0C: 687E0F06
	v_readlane_b32 s82, v3, 16                                 // 000000006C10: D2890052 00012103
	s_lshr_b32 s61, s82, 24                                    // 000000006C18: 8F3D9852
	s_and_b32 s82, s82, 0xffffff                               // 000000006C1C: 8652FF52 00FFFFFF
	s_mul_i32 s82, s82, s71                                    // 000000006C24: 92524752
	s_mul_i32 s61, s60, s61                                    // 000000006C28: 923D3D3C
	s_add_u32 s82, s82, s61                                    // 000000006C2C: 80523D52
	v_mul_lo_u32 v6, v5, s82                                   // 000000006C30: D2850006 0000A505
	v_readlane_b32 s82, v3, 17                                 // 000000006C38: D2890052 00012303
	s_lshr_b32 s61, s82, 24                                    // 000000006C40: 8F3D9852
	s_and_b32 s82, s82, 0xffffff                               // 000000006C44: 8652FF52 00FFFFFF
	s_mul_i32 s82, s82, s71                                    // 000000006C4C: 92524752
	s_mul_i32 s61, s60, s61                                    // 000000006C50: 923D3D3C
	s_add_u32 s82, s82, s61                                    // 000000006C54: 80523D52
	v_mul_lo_u32 v7, v4, s82                                   // 000000006C58: D2850007 0000A504
	v_add_u32_e32 v64, v6, v7                                  // 000000006C60: 68800F06
	v_readlane_b32 s82, v3, 18                                 // 000000006C64: D2890052 00012503
	s_lshr_b32 s61, s82, 24                                    // 000000006C6C: 8F3D9852
	s_and_b32 s82, s82, 0xffffff                               // 000000006C70: 8652FF52 00FFFFFF
	s_mul_i32 s82, s82, s71                                    // 000000006C78: 92524752
	s_mul_i32 s61, s60, s61                                    // 000000006C7C: 923D3D3C
	s_add_u32 s82, s82, s61                                    // 000000006C80: 80523D52
	v_mul_lo_u32 v6, v5, s82                                   // 000000006C84: D2850006 0000A505
	v_readlane_b32 s82, v3, 19                                 // 000000006C8C: D2890052 00012703
	s_lshr_b32 s61, s82, 24                                    // 000000006C94: 8F3D9852
	s_and_b32 s82, s82, 0xffffff                               // 000000006C98: 8652FF52 00FFFFFF
	s_mul_i32 s82, s82, s71                                    // 000000006CA0: 92524752
	s_mul_i32 s61, s60, s61                                    // 000000006CA4: 923D3D3C
	s_add_u32 s82, s82, s61                                    // 000000006CA8: 80523D52
	v_mul_lo_u32 v7, v4, s82                                   // 000000006CAC: D2850007 0000A504
	v_add_u32_e32 v65, v6, v7                                  // 000000006CB4: 68820F06
	v_readlane_b32 s82, v3, 20                                 // 000000006CB8: D2890052 00012903
	s_lshr_b32 s61, s82, 24                                    // 000000006CC0: 8F3D9852
	s_and_b32 s82, s82, 0xffffff                               // 000000006CC4: 8652FF52 00FFFFFF
	s_mul_i32 s82, s82, s71                                    // 000000006CCC: 92524752
	s_mul_i32 s61, s60, s61                                    // 000000006CD0: 923D3D3C
	s_add_u32 s82, s82, s61                                    // 000000006CD4: 80523D52
	v_mul_lo_u32 v6, v5, s82                                   // 000000006CD8: D2850006 0000A505
	v_readlane_b32 s82, v3, 21                                 // 000000006CE0: D2890052 00012B03
	s_lshr_b32 s61, s82, 24                                    // 000000006CE8: 8F3D9852
	s_and_b32 s82, s82, 0xffffff                               // 000000006CEC: 8652FF52 00FFFFFF
	s_mul_i32 s82, s82, s71                                    // 000000006CF4: 92524752
	s_mul_i32 s61, s60, s61                                    // 000000006CF8: 923D3D3C
	s_add_u32 s82, s82, s61                                    // 000000006CFC: 80523D52
	v_mul_lo_u32 v7, v4, s82                                   // 000000006D00: D2850007 0000A504
	v_add_u32_e32 v66, v6, v7                                  // 000000006D08: 68840F06
	v_readlane_b32 s82, v3, 22                                 // 000000006D0C: D2890052 00012D03
	s_lshr_b32 s61, s82, 24                                    // 000000006D14: 8F3D9852
	s_and_b32 s82, s82, 0xffffff                               // 000000006D18: 8652FF52 00FFFFFF
	s_mul_i32 s82, s82, s71                                    // 000000006D20: 92524752
	s_mul_i32 s61, s60, s61                                    // 000000006D24: 923D3D3C
	s_add_u32 s82, s82, s61                                    // 000000006D28: 80523D52
	v_mul_lo_u32 v6, v5, s82                                   // 000000006D2C: D2850006 0000A505
	v_readlane_b32 s82, v3, 23                                 // 000000006D34: D2890052 00012F03
	s_lshr_b32 s61, s82, 24                                    // 000000006D3C: 8F3D9852
	s_and_b32 s82, s82, 0xffffff                               // 000000006D40: 8652FF52 00FFFFFF
	s_mul_i32 s82, s82, s71                                    // 000000006D48: 92524752
	s_mul_i32 s61, s60, s61                                    // 000000006D4C: 923D3D3C
	s_add_u32 s82, s82, s61                                    // 000000006D50: 80523D52
	v_mul_lo_u32 v7, v4, s82                                   // 000000006D54: D2850007 0000A504
	v_add_u32_e32 v67, v6, v7                                  // 000000006D5C: 68860F06
	v_readlane_b32 s82, v3, 24                                 // 000000006D60: D2890052 00013103
	s_lshr_b32 s61, s82, 24                                    // 000000006D68: 8F3D9852
	s_and_b32 s82, s82, 0xffffff                               // 000000006D6C: 8652FF52 00FFFFFF
	s_mul_i32 s82, s82, s71                                    // 000000006D74: 92524752
	s_mul_i32 s61, s60, s61                                    // 000000006D78: 923D3D3C
	s_add_u32 s82, s82, s61                                    // 000000006D7C: 80523D52
	v_mul_lo_u32 v6, v5, s82                                   // 000000006D80: D2850006 0000A505
	v_readlane_b32 s82, v3, 25                                 // 000000006D88: D2890052 00013303
	s_lshr_b32 s61, s82, 24                                    // 000000006D90: 8F3D9852
	s_and_b32 s82, s82, 0xffffff                               // 000000006D94: 8652FF52 00FFFFFF
	s_mul_i32 s82, s82, s71                                    // 000000006D9C: 92524752
	s_mul_i32 s61, s60, s61                                    // 000000006DA0: 923D3D3C
	s_add_u32 s82, s82, s61                                    // 000000006DA4: 80523D52
	v_mul_lo_u32 v7, v4, s82                                   // 000000006DA8: D2850007 0000A504
	v_add_u32_e32 v68, v6, v7                                  // 000000006DB0: 68880F06
	v_readlane_b32 s82, v3, 26                                 // 000000006DB4: D2890052 00013503
	s_lshr_b32 s61, s82, 24                                    // 000000006DBC: 8F3D9852
	s_and_b32 s82, s82, 0xffffff                               // 000000006DC0: 8652FF52 00FFFFFF
	s_mul_i32 s82, s82, s71                                    // 000000006DC8: 92524752
	s_mul_i32 s61, s60, s61                                    // 000000006DCC: 923D3D3C
	s_add_u32 s82, s82, s61                                    // 000000006DD0: 80523D52
	v_mul_lo_u32 v6, v5, s82                                   // 000000006DD4: D2850006 0000A505
	v_readlane_b32 s82, v3, 27                                 // 000000006DDC: D2890052 00013703
	s_lshr_b32 s61, s82, 24                                    // 000000006DE4: 8F3D9852
	s_and_b32 s82, s82, 0xffffff                               // 000000006DE8: 8652FF52 00FFFFFF
	s_mul_i32 s82, s82, s71                                    // 000000006DF0: 92524752
	s_mul_i32 s61, s60, s61                                    // 000000006DF4: 923D3D3C
	s_add_u32 s82, s82, s61                                    // 000000006DF8: 80523D52
	v_mul_lo_u32 v7, v4, s82                                   // 000000006DFC: D2850007 0000A504
	v_add_u32_e32 v69, v6, v7                                  // 000000006E04: 688A0F06
	v_and_b32_e32 v4, 31, v0                                   // 000000006E08: 2608009F
	v_lshrrev_b32_e32 v4, 1, v4                                // 000000006E0C: 20080881
	s_cmp_eq_u32 s88, 0                                        // 000000006E10: BF068058
	s_cselect_b32 s61, 2, 4                                    // 000000006E14: 853D8482
	v_mul_lo_u32 v4, v4, s61                                   // 000000006E18: D2850004 00007B04
	v_and_b32_e64 v5, v0, 1                                    // 000000006E20: D1130005 00010300
	v_add_u32_e32 v4, v4, v5                                   // 000000006E28: 68080B04
	v_lshlrev_b32_e32 v4, 2, v4                                // 000000006E2C: 24080882
	v_add_u32_e32 v56, v56, v4                                 // 000000006E30: 68700938
	v_add_u32_e32 v57, v57, v4                                 // 000000006E34: 68720939
	v_add_u32_e32 v58, v58, v4                                 // 000000006E38: 6874093A
	v_add_u32_e32 v59, v59, v4                                 // 000000006E3C: 6876093B
	v_add_u32_e32 v60, v60, v4                                 // 000000006E40: 6878093C
	v_add_u32_e32 v61, v61, v4                                 // 000000006E44: 687A093D
	v_add_u32_e32 v62, v62, v4                                 // 000000006E48: 687C093E
	v_add_u32_e32 v63, v63, v4                                 // 000000006E4C: 687E093F
	v_add_u32_e32 v64, v64, v4                                 // 000000006E50: 68800940
	v_add_u32_e32 v65, v65, v4                                 // 000000006E54: 68820941
	v_add_u32_e32 v66, v66, v4                                 // 000000006E58: 68840942
	v_add_u32_e32 v67, v67, v4                                 // 000000006E5C: 68860943
	v_add_u32_e32 v68, v68, v4                                 // 000000006E60: 68880944
	v_add_u32_e32 v69, v69, v4                                 // 000000006E64: 688A0945
	s_waitcnt lgkmcnt(0)                                       // 000000006E68: BF8CC07F
	s_barrier                                                  // 000000006E6C: BF8A0000
	ds_read_b32 v72, v21                                       // 000000006E70: D86C0000 48000015
	ds_read_b32 v73, v21 offset:64                             // 000000006E78: D86C0040 49000015
	ds_read_b32 v76, v21 offset:2176                           // 000000006E80: D86C0880 4C000015
	ds_read_b32 v77, v21 offset:2240                           // 000000006E88: D86C08C0 4D000015
	ds_read_b32 v80, v21 offset:4352                           // 000000006E90: D86C1100 50000015
	ds_read_b32 v81, v21 offset:4416                           // 000000006E98: D86C1140 51000015
	ds_read_b32 v84, v21 offset:6528                           // 000000006EA0: D86C1980 54000015
	ds_read_b32 v85, v21 offset:6592                           // 000000006EA8: D86C19C0 55000015
	ds_read_b32 v88, v21 offset:8704                           // 000000006EB0: D86C2200 58000015
	ds_read_b32 v89, v21 offset:8768                           // 000000006EB8: D86C2240 59000015
	ds_read_b32 v92, v21 offset:10880                          // 000000006EC0: D86C2A80 5C000015
	ds_read_b32 v93, v21 offset:10944                          // 000000006EC8: D86C2AC0 5D000015
	ds_read_b32 v96, v21 offset:13056                          // 000000006ED0: D86C3300 60000015
	ds_read_b32 v97, v21 offset:13120                          // 000000006ED8: D86C3340 61000015
	ds_read_b32 v100, v21 offset:15232                         // 000000006EE0: D86C3B80 64000015
	ds_read_b32 v101, v21 offset:15296                         // 000000006EE8: D86C3BC0 65000015
	ds_read_b32 v104, v21 offset:17408                         // 000000006EF0: D86C4400 68000015
	ds_read_b32 v105, v21 offset:17472                         // 000000006EF8: D86C4440 69000015
	ds_read_b32 v108, v21 offset:19584                         // 000000006F00: D86C4C80 6C000015
	ds_read_b32 v109, v21 offset:19648                         // 000000006F08: D86C4CC0 6D000015
	ds_read_b32 v112, v21 offset:21760                         // 000000006F10: D86C5500 70000015
	ds_read_b32 v113, v21 offset:21824                         // 000000006F18: D86C5540 71000015
	ds_read_b32 v116, v21 offset:23936                         // 000000006F20: D86C5D80 74000015
	ds_read_b32 v117, v21 offset:24000                         // 000000006F28: D86C5DC0 75000015
	ds_read_b32 v120, v21 offset:26112                         // 000000006F30: D86C6600 78000015
	ds_read_b32 v121, v21 offset:26176                         // 000000006F38: D86C6640 79000015
	ds_read_b32 v124, v21 offset:28288                         // 000000006F40: D86C6E80 7C000015
	ds_read_b32 v125, v21 offset:28352                         // 000000006F48: D86C6EC0 7D000015
	s_waitcnt lgkmcnt(0)                                       // 000000006F50: BF8CC07F
	s_mov_b32 s36, -1                                          // 000000006F54: BEA400C1
	s_mov_b32 s37, -1                                          // 000000006F58: BEA500C1
	v_mov_b32_e32 v7, 0                                        // 000000006F5C: 7E0E0280
	s_mov_b64 exec, s[36:37]                                   // 000000006F60: BEFE0124
	v_mov_b32_e32 v6, v56                                      // 000000006F64: 7E0C0338
	s_mov_b64 s[60:61], 0                                      // 000000006F68: BEBC0180
	v_readlane_b32 s82, v3, 0                                  // 000000006F6C: D2890052 00010103
	s_and_b32 s82, s82, 0xffffff                               // 000000006F74: 8652FF52 00FFFFFF
	s_cmp_lt_u32 s82, s66                                      // 000000006F7C: BF0A4252
	s_cselect_b32 s20, s36, s60                                // 000000006F80: 85143C24
	v_readlane_b32 s82, v3, 1                                  // 000000006F84: D2890052 00010303
	s_and_b32 s82, s82, 0xffffff                               // 000000006F8C: 8652FF52 00FFFFFF
	s_cmp_lt_u32 s82, s66                                      // 000000006F94: BF0A4252
	s_cselect_b32 s21, s36, s60                                // 000000006F98: 85153C24
	s_mov_b64 exec, s[20:21]                                   // 000000006F9C: BEFE0114
	global_atomic_add_f32 v6, v72, s[8:9]                      // 000000006FA0: DD348000 00084806
	global_atomic_add_f32 v6, v76, s[8:9] offset:256           // 000000006FA8: DD348100 00084C06
	s_mov_b64 exec, s[36:37]                                   // 000000006FB0: BEFE0124
	v_mov_b32_e32 v6, v57                                      // 000000006FB4: 7E0C0339
	s_mov_b64 s[60:61], 0                                      // 000000006FB8: BEBC0180
	v_readlane_b32 s82, v3, 2                                  // 000000006FBC: D2890052 00010503
	s_and_b32 s82, s82, 0xffffff                               // 000000006FC4: 8652FF52 00FFFFFF
	s_cmp_lt_u32 s82, s66                                      // 000000006FCC: BF0A4252
	s_cselect_b32 s20, s36, s60                                // 000000006FD0: 85143C24
	v_readlane_b32 s82, v3, 3                                  // 000000006FD4: D2890052 00010703
	s_and_b32 s82, s82, 0xffffff                               // 000000006FDC: 8652FF52 00FFFFFF
	s_cmp_lt_u32 s82, s66                                      // 000000006FE4: BF0A4252
	s_cselect_b32 s21, s36, s60                                // 000000006FE8: 85153C24
	s_mov_b64 exec, s[20:21]                                   // 000000006FEC: BEFE0114
	global_atomic_add_f32 v6, v73, s[8:9]                      // 000000006FF0: DD348000 00084906
	global_atomic_add_f32 v6, v77, s[8:9] offset:256           // 000000006FF8: DD348100 00084D06
	s_mov_b64 exec, s[36:37]                                   // 000000007000: BEFE0124
	v_mov_b32_e32 v6, v58                                      // 000000007004: 7E0C033A
	s_mov_b64 s[60:61], 0                                      // 000000007008: BEBC0180
	v_readlane_b32 s82, v3, 4                                  // 00000000700C: D2890052 00010903
	s_and_b32 s82, s82, 0xffffff                               // 000000007014: 8652FF52 00FFFFFF
	s_cmp_lt_u32 s82, s66                                      // 00000000701C: BF0A4252
	s_cselect_b32 s20, s36, s60                                // 000000007020: 85143C24
	v_readlane_b32 s82, v3, 5                                  // 000000007024: D2890052 00010B03
	s_and_b32 s82, s82, 0xffffff                               // 00000000702C: 8652FF52 00FFFFFF
	s_cmp_lt_u32 s82, s66                                      // 000000007034: BF0A4252
	s_cselect_b32 s21, s36, s60                                // 000000007038: 85153C24
	s_mov_b64 exec, s[20:21]                                   // 00000000703C: BEFE0114
	global_atomic_add_f32 v6, v80, s[8:9]                      // 000000007040: DD348000 00085006
	global_atomic_add_f32 v6, v84, s[8:9] offset:256           // 000000007048: DD348100 00085406
	s_mov_b64 exec, s[36:37]                                   // 000000007050: BEFE0124
	v_mov_b32_e32 v6, v59                                      // 000000007054: 7E0C033B
	s_mov_b64 s[60:61], 0                                      // 000000007058: BEBC0180
	v_readlane_b32 s82, v3, 6                                  // 00000000705C: D2890052 00010D03
	s_and_b32 s82, s82, 0xffffff                               // 000000007064: 8652FF52 00FFFFFF
	s_cmp_lt_u32 s82, s66                                      // 00000000706C: BF0A4252
	s_cselect_b32 s20, s36, s60                                // 000000007070: 85143C24
	v_readlane_b32 s82, v3, 7                                  // 000000007074: D2890052 00010F03
	s_and_b32 s82, s82, 0xffffff                               // 00000000707C: 8652FF52 00FFFFFF
	s_cmp_lt_u32 s82, s66                                      // 000000007084: BF0A4252
	s_cselect_b32 s21, s36, s60                                // 000000007088: 85153C24
	s_mov_b64 exec, s[20:21]                                   // 00000000708C: BEFE0114
	global_atomic_add_f32 v6, v81, s[8:9]                      // 000000007090: DD348000 00085106
	global_atomic_add_f32 v6, v85, s[8:9] offset:256           // 000000007098: DD348100 00085506
	s_mov_b64 exec, s[36:37]                                   // 0000000070A0: BEFE0124
	v_mov_b32_e32 v6, v60                                      // 0000000070A4: 7E0C033C
	s_mov_b64 s[60:61], 0                                      // 0000000070A8: BEBC0180
	v_readlane_b32 s82, v3, 8                                  // 0000000070AC: D2890052 00011103
	s_and_b32 s82, s82, 0xffffff                               // 0000000070B4: 8652FF52 00FFFFFF
	s_cmp_lt_u32 s82, s66                                      // 0000000070BC: BF0A4252
	s_cselect_b32 s20, s36, s60                                // 0000000070C0: 85143C24
	v_readlane_b32 s82, v3, 9                                  // 0000000070C4: D2890052 00011303
	s_and_b32 s82, s82, 0xffffff                               // 0000000070CC: 8652FF52 00FFFFFF
	s_cmp_lt_u32 s82, s66                                      // 0000000070D4: BF0A4252
	s_cselect_b32 s21, s36, s60                                // 0000000070D8: 85153C24
	s_mov_b64 exec, s[20:21]                                   // 0000000070DC: BEFE0114
	global_atomic_add_f32 v6, v88, s[8:9]                      // 0000000070E0: DD348000 00085806
	global_atomic_add_f32 v6, v92, s[8:9] offset:256           // 0000000070E8: DD348100 00085C06
	s_mov_b64 exec, s[36:37]                                   // 0000000070F0: BEFE0124
	v_mov_b32_e32 v6, v61                                      // 0000000070F4: 7E0C033D
	s_mov_b64 s[60:61], 0                                      // 0000000070F8: BEBC0180
	v_readlane_b32 s82, v3, 10                                 // 0000000070FC: D2890052 00011503
	s_and_b32 s82, s82, 0xffffff                               // 000000007104: 8652FF52 00FFFFFF
	s_cmp_lt_u32 s82, s66                                      // 00000000710C: BF0A4252
	s_cselect_b32 s20, s36, s60                                // 000000007110: 85143C24
	v_readlane_b32 s82, v3, 11                                 // 000000007114: D2890052 00011703
	s_and_b32 s82, s82, 0xffffff                               // 00000000711C: 8652FF52 00FFFFFF
	s_cmp_lt_u32 s82, s66                                      // 000000007124: BF0A4252
	s_cselect_b32 s21, s36, s60                                // 000000007128: 85153C24
	s_mov_b64 exec, s[20:21]                                   // 00000000712C: BEFE0114
	global_atomic_add_f32 v6, v89, s[8:9]                      // 000000007130: DD348000 00085906
	global_atomic_add_f32 v6, v93, s[8:9] offset:256           // 000000007138: DD348100 00085D06
	s_mov_b64 exec, s[36:37]                                   // 000000007140: BEFE0124
	v_mov_b32_e32 v6, v62                                      // 000000007144: 7E0C033E
	s_mov_b64 s[60:61], 0                                      // 000000007148: BEBC0180
	v_readlane_b32 s82, v3, 12                                 // 00000000714C: D2890052 00011903
	s_and_b32 s82, s82, 0xffffff                               // 000000007154: 8652FF52 00FFFFFF
	s_cmp_lt_u32 s82, s66                                      // 00000000715C: BF0A4252
	s_cselect_b32 s20, s36, s60                                // 000000007160: 85143C24
	v_readlane_b32 s82, v3, 13                                 // 000000007164: D2890052 00011B03
	s_and_b32 s82, s82, 0xffffff                               // 00000000716C: 8652FF52 00FFFFFF
	s_cmp_lt_u32 s82, s66                                      // 000000007174: BF0A4252
	s_cselect_b32 s21, s36, s60                                // 000000007178: 85153C24
	s_mov_b64 exec, s[20:21]                                   // 00000000717C: BEFE0114
	global_atomic_add_f32 v6, v96, s[8:9]                      // 000000007180: DD348000 00086006
	global_atomic_add_f32 v6, v100, s[8:9] offset:256          // 000000007188: DD348100 00086406
	s_mov_b64 exec, s[36:37]                                   // 000000007190: BEFE0124
	v_mov_b32_e32 v6, v63                                      // 000000007194: 7E0C033F
	s_mov_b64 s[60:61], 0                                      // 000000007198: BEBC0180
	v_readlane_b32 s82, v3, 14                                 // 00000000719C: D2890052 00011D03
	s_and_b32 s82, s82, 0xffffff                               // 0000000071A4: 8652FF52 00FFFFFF
	s_cmp_lt_u32 s82, s66                                      // 0000000071AC: BF0A4252
	s_cselect_b32 s20, s36, s60                                // 0000000071B0: 85143C24
	v_readlane_b32 s82, v3, 15                                 // 0000000071B4: D2890052 00011F03
	s_and_b32 s82, s82, 0xffffff                               // 0000000071BC: 8652FF52 00FFFFFF
	s_cmp_lt_u32 s82, s66                                      // 0000000071C4: BF0A4252
	s_cselect_b32 s21, s36, s60                                // 0000000071C8: 85153C24
	s_mov_b64 exec, s[20:21]                                   // 0000000071CC: BEFE0114
	global_atomic_add_f32 v6, v97, s[8:9]                      // 0000000071D0: DD348000 00086106
	global_atomic_add_f32 v6, v101, s[8:9] offset:256          // 0000000071D8: DD348100 00086506
	s_mov_b64 exec, s[36:37]                                   // 0000000071E0: BEFE0124
	v_mov_b32_e32 v6, v64                                      // 0000000071E4: 7E0C0340
	s_mov_b64 s[60:61], 0                                      // 0000000071E8: BEBC0180
	v_readlane_b32 s82, v3, 16                                 // 0000000071EC: D2890052 00012103
	s_and_b32 s82, s82, 0xffffff                               // 0000000071F4: 8652FF52 00FFFFFF
	s_cmp_lt_u32 s82, s66                                      // 0000000071FC: BF0A4252
	s_cselect_b32 s20, s36, s60                                // 000000007200: 85143C24
	v_readlane_b32 s82, v3, 17                                 // 000000007204: D2890052 00012303
	s_and_b32 s82, s82, 0xffffff                               // 00000000720C: 8652FF52 00FFFFFF
	s_cmp_lt_u32 s82, s66                                      // 000000007214: BF0A4252
	s_cselect_b32 s21, s36, s60                                // 000000007218: 85153C24
	s_mov_b64 exec, s[20:21]                                   // 00000000721C: BEFE0114
	global_atomic_add_f32 v6, v104, s[8:9]                     // 000000007220: DD348000 00086806
	global_atomic_add_f32 v6, v108, s[8:9] offset:256          // 000000007228: DD348100 00086C06
	s_mov_b64 exec, s[36:37]                                   // 000000007230: BEFE0124
	v_mov_b32_e32 v6, v65                                      // 000000007234: 7E0C0341
	s_mov_b64 s[60:61], 0                                      // 000000007238: BEBC0180
	v_readlane_b32 s82, v3, 18                                 // 00000000723C: D2890052 00012503
	s_and_b32 s82, s82, 0xffffff                               // 000000007244: 8652FF52 00FFFFFF
	s_cmp_lt_u32 s82, s66                                      // 00000000724C: BF0A4252
	s_cselect_b32 s20, s36, s60                                // 000000007250: 85143C24
	v_readlane_b32 s82, v3, 19                                 // 000000007254: D2890052 00012703
	s_and_b32 s82, s82, 0xffffff                               // 00000000725C: 8652FF52 00FFFFFF
	s_cmp_lt_u32 s82, s66                                      // 000000007264: BF0A4252
	s_cselect_b32 s21, s36, s60                                // 000000007268: 85153C24
	s_mov_b64 exec, s[20:21]                                   // 00000000726C: BEFE0114
	global_atomic_add_f32 v6, v105, s[8:9]                     // 000000007270: DD348000 00086906
	global_atomic_add_f32 v6, v109, s[8:9] offset:256          // 000000007278: DD348100 00086D06
	s_mov_b64 exec, s[36:37]                                   // 000000007280: BEFE0124
	v_mov_b32_e32 v6, v66                                      // 000000007284: 7E0C0342
	s_mov_b64 s[60:61], 0                                      // 000000007288: BEBC0180
	v_readlane_b32 s82, v3, 20                                 // 00000000728C: D2890052 00012903
	s_and_b32 s82, s82, 0xffffff                               // 000000007294: 8652FF52 00FFFFFF
	s_cmp_lt_u32 s82, s66                                      // 00000000729C: BF0A4252
	s_cselect_b32 s20, s36, s60                                // 0000000072A0: 85143C24
	v_readlane_b32 s82, v3, 21                                 // 0000000072A4: D2890052 00012B03
	s_and_b32 s82, s82, 0xffffff                               // 0000000072AC: 8652FF52 00FFFFFF
	s_cmp_lt_u32 s82, s66                                      // 0000000072B4: BF0A4252
	s_cselect_b32 s21, s36, s60                                // 0000000072B8: 85153C24
	s_mov_b64 exec, s[20:21]                                   // 0000000072BC: BEFE0114
	global_atomic_add_f32 v6, v112, s[8:9]                     // 0000000072C0: DD348000 00087006
	global_atomic_add_f32 v6, v116, s[8:9] offset:256          // 0000000072C8: DD348100 00087406
	s_mov_b64 exec, s[36:37]                                   // 0000000072D0: BEFE0124
	v_mov_b32_e32 v6, v67                                      // 0000000072D4: 7E0C0343
	s_mov_b64 s[60:61], 0                                      // 0000000072D8: BEBC0180
	v_readlane_b32 s82, v3, 22                                 // 0000000072DC: D2890052 00012D03
	s_and_b32 s82, s82, 0xffffff                               // 0000000072E4: 8652FF52 00FFFFFF
	s_cmp_lt_u32 s82, s66                                      // 0000000072EC: BF0A4252
	s_cselect_b32 s20, s36, s60                                // 0000000072F0: 85143C24
	v_readlane_b32 s82, v3, 23                                 // 0000000072F4: D2890052 00012F03
	s_and_b32 s82, s82, 0xffffff                               // 0000000072FC: 8652FF52 00FFFFFF
	s_cmp_lt_u32 s82, s66                                      // 000000007304: BF0A4252
	s_cselect_b32 s21, s36, s60                                // 000000007308: 85153C24
	s_mov_b64 exec, s[20:21]                                   // 00000000730C: BEFE0114
	global_atomic_add_f32 v6, v113, s[8:9]                     // 000000007310: DD348000 00087106
	global_atomic_add_f32 v6, v117, s[8:9] offset:256          // 000000007318: DD348100 00087506
	s_mov_b64 exec, s[36:37]                                   // 000000007320: BEFE0124
	v_mov_b32_e32 v6, v68                                      // 000000007324: 7E0C0344
	s_mov_b64 s[60:61], 0                                      // 000000007328: BEBC0180
	v_readlane_b32 s82, v3, 24                                 // 00000000732C: D2890052 00013103
	s_and_b32 s82, s82, 0xffffff                               // 000000007334: 8652FF52 00FFFFFF
	s_cmp_lt_u32 s82, s66                                      // 00000000733C: BF0A4252
	s_cselect_b32 s20, s36, s60                                // 000000007340: 85143C24
	v_readlane_b32 s82, v3, 25                                 // 000000007344: D2890052 00013303
	s_and_b32 s82, s82, 0xffffff                               // 00000000734C: 8652FF52 00FFFFFF
	s_cmp_lt_u32 s82, s66                                      // 000000007354: BF0A4252
	s_cselect_b32 s21, s36, s60                                // 000000007358: 85153C24
	s_mov_b64 exec, s[20:21]                                   // 00000000735C: BEFE0114
	global_atomic_add_f32 v6, v120, s[8:9]                     // 000000007360: DD348000 00087806
	global_atomic_add_f32 v6, v124, s[8:9] offset:256          // 000000007368: DD348100 00087C06
	s_mov_b64 exec, s[36:37]                                   // 000000007370: BEFE0124
	v_mov_b32_e32 v6, v69                                      // 000000007374: 7E0C0345
	s_mov_b64 s[60:61], 0                                      // 000000007378: BEBC0180
	v_readlane_b32 s82, v3, 26                                 // 00000000737C: D2890052 00013503
	s_and_b32 s82, s82, 0xffffff                               // 000000007384: 8652FF52 00FFFFFF
	s_cmp_lt_u32 s82, s66                                      // 00000000738C: BF0A4252
	s_cselect_b32 s20, s36, s60                                // 000000007390: 85143C24
	v_readlane_b32 s82, v3, 27                                 // 000000007394: D2890052 00013703
	s_and_b32 s82, s82, 0xffffff                               // 00000000739C: 8652FF52 00FFFFFF
	s_cmp_lt_u32 s82, s66                                      // 0000000073A4: BF0A4252
	s_cselect_b32 s21, s36, s60                                // 0000000073A8: 85153C24
	s_mov_b64 exec, s[20:21]                                   // 0000000073AC: BEFE0114
	global_atomic_add_f32 v6, v121, s[8:9]                     // 0000000073B0: DD348000 00087906
	global_atomic_add_f32 v6, v125, s[8:9] offset:256          // 0000000073B8: DD348100 00087D06
	s_mov_b64 exec, s[36:37]                                   // 0000000073C0: BEFE0124
	ds_write_b64 v20, v[74:75]                                 // 0000000073C4: D89A0000 00004A14
	ds_write_b64 v20, v[78:79] offset:4352                     // 0000000073CC: D89A1100 00004E14
	ds_write_b64 v20, v[82:83] offset:8704                     // 0000000073D4: D89A2200 00005214
	ds_write_b64 v20, v[86:87] offset:13056                    // 0000000073DC: D89A3300 00005614
	ds_write_b64 v20, v[90:91] offset:17408                    // 0000000073E4: D89A4400 00005A14
	ds_write_b64 v20, v[94:95] offset:21760                    // 0000000073EC: D89A5500 00005E14
	ds_write_b64 v20, v[98:99] offset:26112                    // 0000000073F4: D89A6600 00006214
	ds_write_b64 v20, v[102:103] offset:2176                   // 0000000073FC: D89A0880 00006614
	ds_write_b64 v20, v[106:107] offset:6528                   // 000000007404: D89A1980 00006A14
	ds_write_b64 v20, v[110:111] offset:10880                  // 00000000740C: D89A2A80 00006E14
	ds_write_b64 v20, v[114:115] offset:15232                  // 000000007414: D89A3B80 00007214
	ds_write_b64 v20, v[118:119] offset:19584                  // 00000000741C: D89A4C80 00007614
	ds_write_b64 v20, v[122:123] offset:23936                  // 000000007424: D89A5D80 00007A14
	ds_write_b64 v20, v[126:127] offset:28288                  // 00000000742C: D89A6E80 00007E14
	s_waitcnt lgkmcnt(0)                                       // 000000007434: BF8CC07F
	s_barrier                                                  // 000000007438: BF8A0000
	ds_read_b32 v74, v21                                       // 00000000743C: D86C0000 4A000015
	ds_read_b32 v75, v21 offset:64                             // 000000007444: D86C0040 4B000015
	ds_read_b32 v78, v21 offset:2176                           // 00000000744C: D86C0880 4E000015
	ds_read_b32 v79, v21 offset:2240                           // 000000007454: D86C08C0 4F000015
	ds_read_b32 v82, v21 offset:4352                           // 00000000745C: D86C1100 52000015
	ds_read_b32 v83, v21 offset:4416                           // 000000007464: D86C1140 53000015
	ds_read_b32 v86, v21 offset:6528                           // 00000000746C: D86C1980 56000015
	ds_read_b32 v87, v21 offset:6592                           // 000000007474: D86C19C0 57000015
	ds_read_b32 v90, v21 offset:8704                           // 00000000747C: D86C2200 5A000015
	ds_read_b32 v91, v21 offset:8768                           // 000000007484: D86C2240 5B000015
	ds_read_b32 v94, v21 offset:10880                          // 00000000748C: D86C2A80 5E000015
	ds_read_b32 v95, v21 offset:10944                          // 000000007494: D86C2AC0 5F000015
	ds_read_b32 v98, v21 offset:13056                          // 00000000749C: D86C3300 62000015
	ds_read_b32 v99, v21 offset:13120                          // 0000000074A4: D86C3340 63000015
	ds_read_b32 v102, v21 offset:15232                         // 0000000074AC: D86C3B80 66000015
	ds_read_b32 v103, v21 offset:15296                         // 0000000074B4: D86C3BC0 67000015
	ds_read_b32 v106, v21 offset:17408                         // 0000000074BC: D86C4400 6A000015
	ds_read_b32 v107, v21 offset:17472                         // 0000000074C4: D86C4440 6B000015
	ds_read_b32 v110, v21 offset:19584                         // 0000000074CC: D86C4C80 6E000015
	ds_read_b32 v111, v21 offset:19648                         // 0000000074D4: D86C4CC0 6F000015
	ds_read_b32 v114, v21 offset:21760                         // 0000000074DC: D86C5500 72000015
	ds_read_b32 v115, v21 offset:21824                         // 0000000074E4: D86C5540 73000015
	ds_read_b32 v118, v21 offset:23936                         // 0000000074EC: D86C5D80 76000015
	ds_read_b32 v119, v21 offset:24000                         // 0000000074F4: D86C5DC0 77000015
	ds_read_b32 v122, v21 offset:26112                         // 0000000074FC: D86C6600 7A000015
	ds_read_b32 v123, v21 offset:26176                         // 000000007504: D86C6640 7B000015
	ds_read_b32 v126, v21 offset:28288                         // 00000000750C: D86C6E80 7E000015
	ds_read_b32 v127, v21 offset:28352                         // 000000007514: D86C6EC0 7F000015
	s_waitcnt lgkmcnt(0)                                       // 00000000751C: BF8CC07F
	v_mov_b32_e32 v7, 0                                        // 000000007520: 7E0E0280
	s_mov_b64 exec, s[36:37]                                   // 000000007524: BEFE0124
	v_mov_b32_e32 v6, v56                                      // 000000007528: 7E0C0338
	s_mov_b64 s[60:61], 0                                      // 00000000752C: BEBC0180
	v_readlane_b32 s82, v3, 0                                  // 000000007530: D2890052 00010103
	s_and_b32 s82, s82, 0xffffff                               // 000000007538: 8652FF52 00FFFFFF
	s_cmp_lt_u32 s82, s66                                      // 000000007540: BF0A4252
	s_cselect_b32 s20, s36, s60                                // 000000007544: 85143C24
	v_readlane_b32 s82, v3, 1                                  // 000000007548: D2890052 00010303
	s_and_b32 s82, s82, 0xffffff                               // 000000007550: 8652FF52 00FFFFFF
	s_cmp_lt_u32 s82, s66                                      // 000000007558: BF0A4252
	s_cselect_b32 s21, s36, s60                                // 00000000755C: 85153C24
	s_mov_b64 exec, s[20:21]                                   // 000000007560: BEFE0114
	global_atomic_add_f32 v6, v74, s[8:9] offset:8             // 000000007564: DD348008 00084A06
	global_atomic_add_f32 v6, v78, s[8:9] offset:264           // 00000000756C: DD348108 00084E06
	s_mov_b64 exec, s[36:37]                                   // 000000007574: BEFE0124
	v_mov_b32_e32 v6, v57                                      // 000000007578: 7E0C0339
	s_mov_b64 s[60:61], 0                                      // 00000000757C: BEBC0180
	v_readlane_b32 s82, v3, 2                                  // 000000007580: D2890052 00010503
	s_and_b32 s82, s82, 0xffffff                               // 000000007588: 8652FF52 00FFFFFF
	s_cmp_lt_u32 s82, s66                                      // 000000007590: BF0A4252
	s_cselect_b32 s20, s36, s60                                // 000000007594: 85143C24
	v_readlane_b32 s82, v3, 3                                  // 000000007598: D2890052 00010703
	s_and_b32 s82, s82, 0xffffff                               // 0000000075A0: 8652FF52 00FFFFFF
	s_cmp_lt_u32 s82, s66                                      // 0000000075A8: BF0A4252
	s_cselect_b32 s21, s36, s60                                // 0000000075AC: 85153C24
	s_mov_b64 exec, s[20:21]                                   // 0000000075B0: BEFE0114
	global_atomic_add_f32 v6, v75, s[8:9] offset:8             // 0000000075B4: DD348008 00084B06
	global_atomic_add_f32 v6, v79, s[8:9] offset:264           // 0000000075BC: DD348108 00084F06
	s_mov_b64 exec, s[36:37]                                   // 0000000075C4: BEFE0124
	v_mov_b32_e32 v6, v58                                      // 0000000075C8: 7E0C033A
	s_mov_b64 s[60:61], 0                                      // 0000000075CC: BEBC0180
	v_readlane_b32 s82, v3, 4                                  // 0000000075D0: D2890052 00010903
	s_and_b32 s82, s82, 0xffffff                               // 0000000075D8: 8652FF52 00FFFFFF
	s_cmp_lt_u32 s82, s66                                      // 0000000075E0: BF0A4252
	s_cselect_b32 s20, s36, s60                                // 0000000075E4: 85143C24
	v_readlane_b32 s82, v3, 5                                  // 0000000075E8: D2890052 00010B03
	s_and_b32 s82, s82, 0xffffff                               // 0000000075F0: 8652FF52 00FFFFFF
	s_cmp_lt_u32 s82, s66                                      // 0000000075F8: BF0A4252
	s_cselect_b32 s21, s36, s60                                // 0000000075FC: 85153C24
	s_mov_b64 exec, s[20:21]                                   // 000000007600: BEFE0114
	global_atomic_add_f32 v6, v82, s[8:9] offset:8             // 000000007604: DD348008 00085206
	global_atomic_add_f32 v6, v86, s[8:9] offset:264           // 00000000760C: DD348108 00085606
	s_mov_b64 exec, s[36:37]                                   // 000000007614: BEFE0124
	v_mov_b32_e32 v6, v59                                      // 000000007618: 7E0C033B
	s_mov_b64 s[60:61], 0                                      // 00000000761C: BEBC0180
	v_readlane_b32 s82, v3, 6                                  // 000000007620: D2890052 00010D03
	s_and_b32 s82, s82, 0xffffff                               // 000000007628: 8652FF52 00FFFFFF
	s_cmp_lt_u32 s82, s66                                      // 000000007630: BF0A4252
	s_cselect_b32 s20, s36, s60                                // 000000007634: 85143C24
	v_readlane_b32 s82, v3, 7                                  // 000000007638: D2890052 00010F03
	s_and_b32 s82, s82, 0xffffff                               // 000000007640: 8652FF52 00FFFFFF
	s_cmp_lt_u32 s82, s66                                      // 000000007648: BF0A4252
	s_cselect_b32 s21, s36, s60                                // 00000000764C: 85153C24
	s_mov_b64 exec, s[20:21]                                   // 000000007650: BEFE0114
	global_atomic_add_f32 v6, v83, s[8:9] offset:8             // 000000007654: DD348008 00085306
	global_atomic_add_f32 v6, v87, s[8:9] offset:264           // 00000000765C: DD348108 00085706
	s_mov_b64 exec, s[36:37]                                   // 000000007664: BEFE0124
	v_mov_b32_e32 v6, v60                                      // 000000007668: 7E0C033C
	s_mov_b64 s[60:61], 0                                      // 00000000766C: BEBC0180
	v_readlane_b32 s82, v3, 8                                  // 000000007670: D2890052 00011103
	s_and_b32 s82, s82, 0xffffff                               // 000000007678: 8652FF52 00FFFFFF
	s_cmp_lt_u32 s82, s66                                      // 000000007680: BF0A4252
	s_cselect_b32 s20, s36, s60                                // 000000007684: 85143C24
	v_readlane_b32 s82, v3, 9                                  // 000000007688: D2890052 00011303
	s_and_b32 s82, s82, 0xffffff                               // 000000007690: 8652FF52 00FFFFFF
	s_cmp_lt_u32 s82, s66                                      // 000000007698: BF0A4252
	s_cselect_b32 s21, s36, s60                                // 00000000769C: 85153C24
	s_mov_b64 exec, s[20:21]                                   // 0000000076A0: BEFE0114
	global_atomic_add_f32 v6, v90, s[8:9] offset:8             // 0000000076A4: DD348008 00085A06
	global_atomic_add_f32 v6, v94, s[8:9] offset:264           // 0000000076AC: DD348108 00085E06
	s_mov_b64 exec, s[36:37]                                   // 0000000076B4: BEFE0124
	v_mov_b32_e32 v6, v61                                      // 0000000076B8: 7E0C033D
	s_mov_b64 s[60:61], 0                                      // 0000000076BC: BEBC0180
	v_readlane_b32 s82, v3, 10                                 // 0000000076C0: D2890052 00011503
	s_and_b32 s82, s82, 0xffffff                               // 0000000076C8: 8652FF52 00FFFFFF
	s_cmp_lt_u32 s82, s66                                      // 0000000076D0: BF0A4252
	s_cselect_b32 s20, s36, s60                                // 0000000076D4: 85143C24
	v_readlane_b32 s82, v3, 11                                 // 0000000076D8: D2890052 00011703
	s_and_b32 s82, s82, 0xffffff                               // 0000000076E0: 8652FF52 00FFFFFF
	s_cmp_lt_u32 s82, s66                                      // 0000000076E8: BF0A4252
	s_cselect_b32 s21, s36, s60                                // 0000000076EC: 85153C24
	s_mov_b64 exec, s[20:21]                                   // 0000000076F0: BEFE0114
	global_atomic_add_f32 v6, v91, s[8:9] offset:8             // 0000000076F4: DD348008 00085B06
	global_atomic_add_f32 v6, v95, s[8:9] offset:264           // 0000000076FC: DD348108 00085F06
	s_mov_b64 exec, s[36:37]                                   // 000000007704: BEFE0124
	v_mov_b32_e32 v6, v62                                      // 000000007708: 7E0C033E
	s_mov_b64 s[60:61], 0                                      // 00000000770C: BEBC0180
	v_readlane_b32 s82, v3, 12                                 // 000000007710: D2890052 00011903
	s_and_b32 s82, s82, 0xffffff                               // 000000007718: 8652FF52 00FFFFFF
	s_cmp_lt_u32 s82, s66                                      // 000000007720: BF0A4252
	s_cselect_b32 s20, s36, s60                                // 000000007724: 85143C24
	v_readlane_b32 s82, v3, 13                                 // 000000007728: D2890052 00011B03
	s_and_b32 s82, s82, 0xffffff                               // 000000007730: 8652FF52 00FFFFFF
	s_cmp_lt_u32 s82, s66                                      // 000000007738: BF0A4252
	s_cselect_b32 s21, s36, s60                                // 00000000773C: 85153C24
	s_mov_b64 exec, s[20:21]                                   // 000000007740: BEFE0114
	global_atomic_add_f32 v6, v98, s[8:9] offset:8             // 000000007744: DD348008 00086206
	global_atomic_add_f32 v6, v102, s[8:9] offset:264          // 00000000774C: DD348108 00086606
	s_mov_b64 exec, s[36:37]                                   // 000000007754: BEFE0124
	v_mov_b32_e32 v6, v63                                      // 000000007758: 7E0C033F
	s_mov_b64 s[60:61], 0                                      // 00000000775C: BEBC0180
	v_readlane_b32 s82, v3, 14                                 // 000000007760: D2890052 00011D03
	s_and_b32 s82, s82, 0xffffff                               // 000000007768: 8652FF52 00FFFFFF
	s_cmp_lt_u32 s82, s66                                      // 000000007770: BF0A4252
	s_cselect_b32 s20, s36, s60                                // 000000007774: 85143C24
	v_readlane_b32 s82, v3, 15                                 // 000000007778: D2890052 00011F03
	s_and_b32 s82, s82, 0xffffff                               // 000000007780: 8652FF52 00FFFFFF
	s_cmp_lt_u32 s82, s66                                      // 000000007788: BF0A4252
	s_cselect_b32 s21, s36, s60                                // 00000000778C: 85153C24
	s_mov_b64 exec, s[20:21]                                   // 000000007790: BEFE0114
	global_atomic_add_f32 v6, v99, s[8:9] offset:8             // 000000007794: DD348008 00086306
	global_atomic_add_f32 v6, v103, s[8:9] offset:264          // 00000000779C: DD348108 00086706
	s_mov_b64 exec, s[36:37]                                   // 0000000077A4: BEFE0124
	v_mov_b32_e32 v6, v64                                      // 0000000077A8: 7E0C0340
	s_mov_b64 s[60:61], 0                                      // 0000000077AC: BEBC0180
	v_readlane_b32 s82, v3, 16                                 // 0000000077B0: D2890052 00012103
	s_and_b32 s82, s82, 0xffffff                               // 0000000077B8: 8652FF52 00FFFFFF
	s_cmp_lt_u32 s82, s66                                      // 0000000077C0: BF0A4252
	s_cselect_b32 s20, s36, s60                                // 0000000077C4: 85143C24
	v_readlane_b32 s82, v3, 17                                 // 0000000077C8: D2890052 00012303
	s_and_b32 s82, s82, 0xffffff                               // 0000000077D0: 8652FF52 00FFFFFF
	s_cmp_lt_u32 s82, s66                                      // 0000000077D8: BF0A4252
	s_cselect_b32 s21, s36, s60                                // 0000000077DC: 85153C24
	s_mov_b64 exec, s[20:21]                                   // 0000000077E0: BEFE0114
	global_atomic_add_f32 v6, v106, s[8:9] offset:8            // 0000000077E4: DD348008 00086A06
	global_atomic_add_f32 v6, v110, s[8:9] offset:264          // 0000000077EC: DD348108 00086E06
	s_mov_b64 exec, s[36:37]                                   // 0000000077F4: BEFE0124
	v_mov_b32_e32 v6, v65                                      // 0000000077F8: 7E0C0341
	s_mov_b64 s[60:61], 0                                      // 0000000077FC: BEBC0180
	v_readlane_b32 s82, v3, 18                                 // 000000007800: D2890052 00012503
	s_and_b32 s82, s82, 0xffffff                               // 000000007808: 8652FF52 00FFFFFF
	s_cmp_lt_u32 s82, s66                                      // 000000007810: BF0A4252
	s_cselect_b32 s20, s36, s60                                // 000000007814: 85143C24
	v_readlane_b32 s82, v3, 19                                 // 000000007818: D2890052 00012703
	s_and_b32 s82, s82, 0xffffff                               // 000000007820: 8652FF52 00FFFFFF
	s_cmp_lt_u32 s82, s66                                      // 000000007828: BF0A4252
	s_cselect_b32 s21, s36, s60                                // 00000000782C: 85153C24
	s_mov_b64 exec, s[20:21]                                   // 000000007830: BEFE0114
	global_atomic_add_f32 v6, v107, s[8:9] offset:8            // 000000007834: DD348008 00086B06
	global_atomic_add_f32 v6, v111, s[8:9] offset:264          // 00000000783C: DD348108 00086F06
	s_mov_b64 exec, s[36:37]                                   // 000000007844: BEFE0124
	v_mov_b32_e32 v6, v66                                      // 000000007848: 7E0C0342
	s_mov_b64 s[60:61], 0                                      // 00000000784C: BEBC0180
	v_readlane_b32 s82, v3, 20                                 // 000000007850: D2890052 00012903
	s_and_b32 s82, s82, 0xffffff                               // 000000007858: 8652FF52 00FFFFFF
	s_cmp_lt_u32 s82, s66                                      // 000000007860: BF0A4252
	s_cselect_b32 s20, s36, s60                                // 000000007864: 85143C24
	v_readlane_b32 s82, v3, 21                                 // 000000007868: D2890052 00012B03
	s_and_b32 s82, s82, 0xffffff                               // 000000007870: 8652FF52 00FFFFFF
	s_cmp_lt_u32 s82, s66                                      // 000000007878: BF0A4252
	s_cselect_b32 s21, s36, s60                                // 00000000787C: 85153C24
	s_mov_b64 exec, s[20:21]                                   // 000000007880: BEFE0114
	global_atomic_add_f32 v6, v114, s[8:9] offset:8            // 000000007884: DD348008 00087206
	global_atomic_add_f32 v6, v118, s[8:9] offset:264          // 00000000788C: DD348108 00087606
	s_mov_b64 exec, s[36:37]                                   // 000000007894: BEFE0124
	v_mov_b32_e32 v6, v67                                      // 000000007898: 7E0C0343
	s_mov_b64 s[60:61], 0                                      // 00000000789C: BEBC0180
	v_readlane_b32 s82, v3, 22                                 // 0000000078A0: D2890052 00012D03
	s_and_b32 s82, s82, 0xffffff                               // 0000000078A8: 8652FF52 00FFFFFF
	s_cmp_lt_u32 s82, s66                                      // 0000000078B0: BF0A4252
	s_cselect_b32 s20, s36, s60                                // 0000000078B4: 85143C24
	v_readlane_b32 s82, v3, 23                                 // 0000000078B8: D2890052 00012F03
	s_and_b32 s82, s82, 0xffffff                               // 0000000078C0: 8652FF52 00FFFFFF
	s_cmp_lt_u32 s82, s66                                      // 0000000078C8: BF0A4252
	s_cselect_b32 s21, s36, s60                                // 0000000078CC: 85153C24
	s_mov_b64 exec, s[20:21]                                   // 0000000078D0: BEFE0114
	global_atomic_add_f32 v6, v115, s[8:9] offset:8            // 0000000078D4: DD348008 00087306
	global_atomic_add_f32 v6, v119, s[8:9] offset:264          // 0000000078DC: DD348108 00087706
	s_mov_b64 exec, s[36:37]                                   // 0000000078E4: BEFE0124
	v_mov_b32_e32 v6, v68                                      // 0000000078E8: 7E0C0344
	s_mov_b64 s[60:61], 0                                      // 0000000078EC: BEBC0180
	v_readlane_b32 s82, v3, 24                                 // 0000000078F0: D2890052 00013103
	s_and_b32 s82, s82, 0xffffff                               // 0000000078F8: 8652FF52 00FFFFFF
	s_cmp_lt_u32 s82, s66                                      // 000000007900: BF0A4252
	s_cselect_b32 s20, s36, s60                                // 000000007904: 85143C24
	v_readlane_b32 s82, v3, 25                                 // 000000007908: D2890052 00013303
	s_and_b32 s82, s82, 0xffffff                               // 000000007910: 8652FF52 00FFFFFF
	s_cmp_lt_u32 s82, s66                                      // 000000007918: BF0A4252
	s_cselect_b32 s21, s36, s60                                // 00000000791C: 85153C24
	s_mov_b64 exec, s[20:21]                                   // 000000007920: BEFE0114
	global_atomic_add_f32 v6, v122, s[8:9] offset:8            // 000000007924: DD348008 00087A06
	global_atomic_add_f32 v6, v126, s[8:9] offset:264          // 00000000792C: DD348108 00087E06
	s_mov_b64 exec, s[36:37]                                   // 000000007934: BEFE0124
	v_mov_b32_e32 v6, v69                                      // 000000007938: 7E0C0345
	s_mov_b64 s[60:61], 0                                      // 00000000793C: BEBC0180
	v_readlane_b32 s82, v3, 26                                 // 000000007940: D2890052 00013503
	s_and_b32 s82, s82, 0xffffff                               // 000000007948: 8652FF52 00FFFFFF
	s_cmp_lt_u32 s82, s66                                      // 000000007950: BF0A4252
	s_cselect_b32 s20, s36, s60                                // 000000007954: 85143C24
	v_readlane_b32 s82, v3, 27                                 // 000000007958: D2890052 00013703
	s_and_b32 s82, s82, 0xffffff                               // 000000007960: 8652FF52 00FFFFFF
	s_cmp_lt_u32 s82, s66                                      // 000000007968: BF0A4252
	s_cselect_b32 s21, s36, s60                                // 00000000796C: 85153C24
	s_mov_b64 exec, s[20:21]                                   // 000000007970: BEFE0114
	global_atomic_add_f32 v6, v123, s[8:9] offset:8            // 000000007974: DD348008 00087B06
	global_atomic_add_f32 v6, v127, s[8:9] offset:264          // 00000000797C: DD348108 00087F06
	s_mov_b64 exec, s[36:37]                                   // 000000007984: BEFE0124
	ds_write_b64 v20, v[128:129]                               // 000000007988: D89A0000 00008014
	ds_write_b64 v20, v[132:133] offset:4352                   // 000000007990: D89A1100 00008414
	ds_write_b64 v20, v[136:137] offset:8704                   // 000000007998: D89A2200 00008814
	ds_write_b64 v20, v[140:141] offset:13056                  // 0000000079A0: D89A3300 00008C14
	ds_write_b64 v20, v[144:145] offset:17408                  // 0000000079A8: D89A4400 00009014
	ds_write_b64 v20, v[148:149] offset:21760                  // 0000000079B0: D89A5500 00009414
	ds_write_b64 v20, v[152:153] offset:26112                  // 0000000079B8: D89A6600 00009814
	ds_write_b64 v20, v[156:157] offset:2176                   // 0000000079C0: D89A0880 00009C14
	ds_write_b64 v20, v[160:161] offset:6528                   // 0000000079C8: D89A1980 0000A014
	ds_write_b64 v20, v[164:165] offset:10880                  // 0000000079D0: D89A2A80 0000A414
	ds_write_b64 v20, v[168:169] offset:15232                  // 0000000079D8: D89A3B80 0000A814
	ds_write_b64 v20, v[172:173] offset:19584                  // 0000000079E0: D89A4C80 0000AC14
	ds_write_b64 v20, v[176:177] offset:23936                  // 0000000079E8: D89A5D80 0000B014
	ds_write_b64 v20, v[180:181] offset:28288                  // 0000000079F0: D89A6E80 0000B414
	s_waitcnt lgkmcnt(0)                                       // 0000000079F8: BF8CC07F
	s_barrier                                                  // 0000000079FC: BF8A0000
	ds_read_b32 v128, v21                                      // 000000007A00: D86C0000 80000015
	ds_read_b32 v129, v21 offset:64                            // 000000007A08: D86C0040 81000015
	ds_read_b32 v132, v21 offset:2176                          // 000000007A10: D86C0880 84000015
	ds_read_b32 v133, v21 offset:2240                          // 000000007A18: D86C08C0 85000015
	ds_read_b32 v136, v21 offset:4352                          // 000000007A20: D86C1100 88000015
	ds_read_b32 v137, v21 offset:4416                          // 000000007A28: D86C1140 89000015
	ds_read_b32 v140, v21 offset:6528                          // 000000007A30: D86C1980 8C000015
	ds_read_b32 v141, v21 offset:6592                          // 000000007A38: D86C19C0 8D000015
	ds_read_b32 v144, v21 offset:8704                          // 000000007A40: D86C2200 90000015
	ds_read_b32 v145, v21 offset:8768                          // 000000007A48: D86C2240 91000015
	ds_read_b32 v148, v21 offset:10880                         // 000000007A50: D86C2A80 94000015
	ds_read_b32 v149, v21 offset:10944                         // 000000007A58: D86C2AC0 95000015
	ds_read_b32 v152, v21 offset:13056                         // 000000007A60: D86C3300 98000015
	ds_read_b32 v153, v21 offset:13120                         // 000000007A68: D86C3340 99000015
	ds_read_b32 v156, v21 offset:15232                         // 000000007A70: D86C3B80 9C000015
	ds_read_b32 v157, v21 offset:15296                         // 000000007A78: D86C3BC0 9D000015
	ds_read_b32 v160, v21 offset:17408                         // 000000007A80: D86C4400 A0000015
	ds_read_b32 v161, v21 offset:17472                         // 000000007A88: D86C4440 A1000015
	ds_read_b32 v164, v21 offset:19584                         // 000000007A90: D86C4C80 A4000015
	ds_read_b32 v165, v21 offset:19648                         // 000000007A98: D86C4CC0 A5000015
	ds_read_b32 v168, v21 offset:21760                         // 000000007AA0: D86C5500 A8000015
	ds_read_b32 v169, v21 offset:21824                         // 000000007AA8: D86C5540 A9000015
	ds_read_b32 v172, v21 offset:23936                         // 000000007AB0: D86C5D80 AC000015
	ds_read_b32 v173, v21 offset:24000                         // 000000007AB8: D86C5DC0 AD000015
	ds_read_b32 v176, v21 offset:26112                         // 000000007AC0: D86C6600 B0000015
	ds_read_b32 v177, v21 offset:26176                         // 000000007AC8: D86C6640 B1000015
	ds_read_b32 v180, v21 offset:28288                         // 000000007AD0: D86C6E80 B4000015
	ds_read_b32 v181, v21 offset:28352                         // 000000007AD8: D86C6EC0 B5000015
	s_mul_i32 s60, s65, 4                                      // 000000007AE0: 923C8441
	s_add_u32 s8, s60, s8                                      // 000000007AE4: 8008083C
	s_addc_u32 s9, 0, s9                                       // 000000007AE8: 82090980
	s_waitcnt lgkmcnt(0)                                       // 000000007AEC: BF8CC07F
	v_mov_b32_e32 v7, 0                                        // 000000007AF0: 7E0E0280
	s_mov_b64 exec, s[36:37]                                   // 000000007AF4: BEFE0124
	v_mov_b32_e32 v6, v56                                      // 000000007AF8: 7E0C0338
	s_mov_b64 s[60:61], 0                                      // 000000007AFC: BEBC0180
	v_readlane_b32 s82, v3, 0                                  // 000000007B00: D2890052 00010103
	s_and_b32 s82, s82, 0xffffff                               // 000000007B08: 8652FF52 00FFFFFF
	s_cmp_lt_u32 s82, s66                                      // 000000007B10: BF0A4252
	s_cselect_b32 s20, s36, s60                                // 000000007B14: 85143C24
	v_readlane_b32 s82, v3, 1                                  // 000000007B18: D2890052 00010303
	s_and_b32 s82, s82, 0xffffff                               // 000000007B20: 8652FF52 00FFFFFF
	s_cmp_lt_u32 s82, s66                                      // 000000007B28: BF0A4252
	s_cselect_b32 s21, s36, s60                                // 000000007B2C: 85153C24
	s_mov_b64 exec, s[20:21]                                   // 000000007B30: BEFE0114
	global_atomic_add_f32 v6, v128, s[8:9]                     // 000000007B34: DD348000 00088006
	global_atomic_add_f32 v6, v132, s[8:9] offset:256          // 000000007B3C: DD348100 00088406
	s_mov_b64 exec, s[36:37]                                   // 000000007B44: BEFE0124
	v_mov_b32_e32 v6, v57                                      // 000000007B48: 7E0C0339
	s_mov_b64 s[60:61], 0                                      // 000000007B4C: BEBC0180
	v_readlane_b32 s82, v3, 2                                  // 000000007B50: D2890052 00010503
	s_and_b32 s82, s82, 0xffffff                               // 000000007B58: 8652FF52 00FFFFFF
	s_cmp_lt_u32 s82, s66                                      // 000000007B60: BF0A4252
	s_cselect_b32 s20, s36, s60                                // 000000007B64: 85143C24
	v_readlane_b32 s82, v3, 3                                  // 000000007B68: D2890052 00010703
	s_and_b32 s82, s82, 0xffffff                               // 000000007B70: 8652FF52 00FFFFFF
	s_cmp_lt_u32 s82, s66                                      // 000000007B78: BF0A4252
	s_cselect_b32 s21, s36, s60                                // 000000007B7C: 85153C24
	s_mov_b64 exec, s[20:21]                                   // 000000007B80: BEFE0114
	global_atomic_add_f32 v6, v129, s[8:9]                     // 000000007B84: DD348000 00088106
	global_atomic_add_f32 v6, v133, s[8:9] offset:256          // 000000007B8C: DD348100 00088506
	s_mov_b64 exec, s[36:37]                                   // 000000007B94: BEFE0124
	v_mov_b32_e32 v6, v58                                      // 000000007B98: 7E0C033A
	s_mov_b64 s[60:61], 0                                      // 000000007B9C: BEBC0180
	v_readlane_b32 s82, v3, 4                                  // 000000007BA0: D2890052 00010903
	s_and_b32 s82, s82, 0xffffff                               // 000000007BA8: 8652FF52 00FFFFFF
	s_cmp_lt_u32 s82, s66                                      // 000000007BB0: BF0A4252
	s_cselect_b32 s20, s36, s60                                // 000000007BB4: 85143C24
	v_readlane_b32 s82, v3, 5                                  // 000000007BB8: D2890052 00010B03
	s_and_b32 s82, s82, 0xffffff                               // 000000007BC0: 8652FF52 00FFFFFF
	s_cmp_lt_u32 s82, s66                                      // 000000007BC8: BF0A4252
	s_cselect_b32 s21, s36, s60                                // 000000007BCC: 85153C24
	s_mov_b64 exec, s[20:21]                                   // 000000007BD0: BEFE0114
	global_atomic_add_f32 v6, v136, s[8:9]                     // 000000007BD4: DD348000 00088806
	global_atomic_add_f32 v6, v140, s[8:9] offset:256          // 000000007BDC: DD348100 00088C06
	s_mov_b64 exec, s[36:37]                                   // 000000007BE4: BEFE0124
	v_mov_b32_e32 v6, v59                                      // 000000007BE8: 7E0C033B
	s_mov_b64 s[60:61], 0                                      // 000000007BEC: BEBC0180
	v_readlane_b32 s82, v3, 6                                  // 000000007BF0: D2890052 00010D03
	s_and_b32 s82, s82, 0xffffff                               // 000000007BF8: 8652FF52 00FFFFFF
	s_cmp_lt_u32 s82, s66                                      // 000000007C00: BF0A4252
	s_cselect_b32 s20, s36, s60                                // 000000007C04: 85143C24
	v_readlane_b32 s82, v3, 7                                  // 000000007C08: D2890052 00010F03
	s_and_b32 s82, s82, 0xffffff                               // 000000007C10: 8652FF52 00FFFFFF
	s_cmp_lt_u32 s82, s66                                      // 000000007C18: BF0A4252
	s_cselect_b32 s21, s36, s60                                // 000000007C1C: 85153C24
	s_mov_b64 exec, s[20:21]                                   // 000000007C20: BEFE0114
	global_atomic_add_f32 v6, v137, s[8:9]                     // 000000007C24: DD348000 00088906
	global_atomic_add_f32 v6, v141, s[8:9] offset:256          // 000000007C2C: DD348100 00088D06
	s_mov_b64 exec, s[36:37]                                   // 000000007C34: BEFE0124
	v_mov_b32_e32 v6, v60                                      // 000000007C38: 7E0C033C
	s_mov_b64 s[60:61], 0                                      // 000000007C3C: BEBC0180
	v_readlane_b32 s82, v3, 8                                  // 000000007C40: D2890052 00011103
	s_and_b32 s82, s82, 0xffffff                               // 000000007C48: 8652FF52 00FFFFFF
	s_cmp_lt_u32 s82, s66                                      // 000000007C50: BF0A4252
	s_cselect_b32 s20, s36, s60                                // 000000007C54: 85143C24
	v_readlane_b32 s82, v3, 9                                  // 000000007C58: D2890052 00011303
	s_and_b32 s82, s82, 0xffffff                               // 000000007C60: 8652FF52 00FFFFFF
	s_cmp_lt_u32 s82, s66                                      // 000000007C68: BF0A4252
	s_cselect_b32 s21, s36, s60                                // 000000007C6C: 85153C24
	s_mov_b64 exec, s[20:21]                                   // 000000007C70: BEFE0114
	global_atomic_add_f32 v6, v144, s[8:9]                     // 000000007C74: DD348000 00089006
	global_atomic_add_f32 v6, v148, s[8:9] offset:256          // 000000007C7C: DD348100 00089406
	s_mov_b64 exec, s[36:37]                                   // 000000007C84: BEFE0124
	v_mov_b32_e32 v6, v61                                      // 000000007C88: 7E0C033D
	s_mov_b64 s[60:61], 0                                      // 000000007C8C: BEBC0180
	v_readlane_b32 s82, v3, 10                                 // 000000007C90: D2890052 00011503
	s_and_b32 s82, s82, 0xffffff                               // 000000007C98: 8652FF52 00FFFFFF
	s_cmp_lt_u32 s82, s66                                      // 000000007CA0: BF0A4252
	s_cselect_b32 s20, s36, s60                                // 000000007CA4: 85143C24
	v_readlane_b32 s82, v3, 11                                 // 000000007CA8: D2890052 00011703
	s_and_b32 s82, s82, 0xffffff                               // 000000007CB0: 8652FF52 00FFFFFF
	s_cmp_lt_u32 s82, s66                                      // 000000007CB8: BF0A4252
	s_cselect_b32 s21, s36, s60                                // 000000007CBC: 85153C24
	s_mov_b64 exec, s[20:21]                                   // 000000007CC0: BEFE0114
	global_atomic_add_f32 v6, v145, s[8:9]                     // 000000007CC4: DD348000 00089106
	global_atomic_add_f32 v6, v149, s[8:9] offset:256          // 000000007CCC: DD348100 00089506
	s_mov_b64 exec, s[36:37]                                   // 000000007CD4: BEFE0124
	v_mov_b32_e32 v6, v62                                      // 000000007CD8: 7E0C033E
	s_mov_b64 s[60:61], 0                                      // 000000007CDC: BEBC0180
	v_readlane_b32 s82, v3, 12                                 // 000000007CE0: D2890052 00011903
	s_and_b32 s82, s82, 0xffffff                               // 000000007CE8: 8652FF52 00FFFFFF
	s_cmp_lt_u32 s82, s66                                      // 000000007CF0: BF0A4252
	s_cselect_b32 s20, s36, s60                                // 000000007CF4: 85143C24
	v_readlane_b32 s82, v3, 13                                 // 000000007CF8: D2890052 00011B03
	s_and_b32 s82, s82, 0xffffff                               // 000000007D00: 8652FF52 00FFFFFF
	s_cmp_lt_u32 s82, s66                                      // 000000007D08: BF0A4252
	s_cselect_b32 s21, s36, s60                                // 000000007D0C: 85153C24
	s_mov_b64 exec, s[20:21]                                   // 000000007D10: BEFE0114
	global_atomic_add_f32 v6, v152, s[8:9]                     // 000000007D14: DD348000 00089806
	global_atomic_add_f32 v6, v156, s[8:9] offset:256          // 000000007D1C: DD348100 00089C06
	s_mov_b64 exec, s[36:37]                                   // 000000007D24: BEFE0124
	v_mov_b32_e32 v6, v63                                      // 000000007D28: 7E0C033F
	s_mov_b64 s[60:61], 0                                      // 000000007D2C: BEBC0180
	v_readlane_b32 s82, v3, 14                                 // 000000007D30: D2890052 00011D03
	s_and_b32 s82, s82, 0xffffff                               // 000000007D38: 8652FF52 00FFFFFF
	s_cmp_lt_u32 s82, s66                                      // 000000007D40: BF0A4252
	s_cselect_b32 s20, s36, s60                                // 000000007D44: 85143C24
	v_readlane_b32 s82, v3, 15                                 // 000000007D48: D2890052 00011F03
	s_and_b32 s82, s82, 0xffffff                               // 000000007D50: 8652FF52 00FFFFFF
	s_cmp_lt_u32 s82, s66                                      // 000000007D58: BF0A4252
	s_cselect_b32 s21, s36, s60                                // 000000007D5C: 85153C24
	s_mov_b64 exec, s[20:21]                                   // 000000007D60: BEFE0114
	global_atomic_add_f32 v6, v153, s[8:9]                     // 000000007D64: DD348000 00089906
	global_atomic_add_f32 v6, v157, s[8:9] offset:256          // 000000007D6C: DD348100 00089D06
	s_mov_b64 exec, s[36:37]                                   // 000000007D74: BEFE0124
	v_mov_b32_e32 v6, v64                                      // 000000007D78: 7E0C0340
	s_mov_b64 s[60:61], 0                                      // 000000007D7C: BEBC0180
	v_readlane_b32 s82, v3, 16                                 // 000000007D80: D2890052 00012103
	s_and_b32 s82, s82, 0xffffff                               // 000000007D88: 8652FF52 00FFFFFF
	s_cmp_lt_u32 s82, s66                                      // 000000007D90: BF0A4252
	s_cselect_b32 s20, s36, s60                                // 000000007D94: 85143C24
	v_readlane_b32 s82, v3, 17                                 // 000000007D98: D2890052 00012303
	s_and_b32 s82, s82, 0xffffff                               // 000000007DA0: 8652FF52 00FFFFFF
	s_cmp_lt_u32 s82, s66                                      // 000000007DA8: BF0A4252
	s_cselect_b32 s21, s36, s60                                // 000000007DAC: 85153C24
	s_mov_b64 exec, s[20:21]                                   // 000000007DB0: BEFE0114
	global_atomic_add_f32 v6, v160, s[8:9]                     // 000000007DB4: DD348000 0008A006
	global_atomic_add_f32 v6, v164, s[8:9] offset:256          // 000000007DBC: DD348100 0008A406
	s_mov_b64 exec, s[36:37]                                   // 000000007DC4: BEFE0124
	v_mov_b32_e32 v6, v65                                      // 000000007DC8: 7E0C0341
	s_mov_b64 s[60:61], 0                                      // 000000007DCC: BEBC0180
	v_readlane_b32 s82, v3, 18                                 // 000000007DD0: D2890052 00012503
	s_and_b32 s82, s82, 0xffffff                               // 000000007DD8: 8652FF52 00FFFFFF
	s_cmp_lt_u32 s82, s66                                      // 000000007DE0: BF0A4252
	s_cselect_b32 s20, s36, s60                                // 000000007DE4: 85143C24
	v_readlane_b32 s82, v3, 19                                 // 000000007DE8: D2890052 00012703
	s_and_b32 s82, s82, 0xffffff                               // 000000007DF0: 8652FF52 00FFFFFF
	s_cmp_lt_u32 s82, s66                                      // 000000007DF8: BF0A4252
	s_cselect_b32 s21, s36, s60                                // 000000007DFC: 85153C24
	s_mov_b64 exec, s[20:21]                                   // 000000007E00: BEFE0114
	global_atomic_add_f32 v6, v161, s[8:9]                     // 000000007E04: DD348000 0008A106
	global_atomic_add_f32 v6, v165, s[8:9] offset:256          // 000000007E0C: DD348100 0008A506
	s_mov_b64 exec, s[36:37]                                   // 000000007E14: BEFE0124
	v_mov_b32_e32 v6, v66                                      // 000000007E18: 7E0C0342
	s_mov_b64 s[60:61], 0                                      // 000000007E1C: BEBC0180
	v_readlane_b32 s82, v3, 20                                 // 000000007E20: D2890052 00012903
	s_and_b32 s82, s82, 0xffffff                               // 000000007E28: 8652FF52 00FFFFFF
	s_cmp_lt_u32 s82, s66                                      // 000000007E30: BF0A4252
	s_cselect_b32 s20, s36, s60                                // 000000007E34: 85143C24
	v_readlane_b32 s82, v3, 21                                 // 000000007E38: D2890052 00012B03
	s_and_b32 s82, s82, 0xffffff                               // 000000007E40: 8652FF52 00FFFFFF
	s_cmp_lt_u32 s82, s66                                      // 000000007E48: BF0A4252
	s_cselect_b32 s21, s36, s60                                // 000000007E4C: 85153C24
	s_mov_b64 exec, s[20:21]                                   // 000000007E50: BEFE0114
	global_atomic_add_f32 v6, v168, s[8:9]                     // 000000007E54: DD348000 0008A806
	global_atomic_add_f32 v6, v172, s[8:9] offset:256          // 000000007E5C: DD348100 0008AC06
	s_mov_b64 exec, s[36:37]                                   // 000000007E64: BEFE0124
	v_mov_b32_e32 v6, v67                                      // 000000007E68: 7E0C0343
	s_mov_b64 s[60:61], 0                                      // 000000007E6C: BEBC0180
	v_readlane_b32 s82, v3, 22                                 // 000000007E70: D2890052 00012D03
	s_and_b32 s82, s82, 0xffffff                               // 000000007E78: 8652FF52 00FFFFFF
	s_cmp_lt_u32 s82, s66                                      // 000000007E80: BF0A4252
	s_cselect_b32 s20, s36, s60                                // 000000007E84: 85143C24
	v_readlane_b32 s82, v3, 23                                 // 000000007E88: D2890052 00012F03
	s_and_b32 s82, s82, 0xffffff                               // 000000007E90: 8652FF52 00FFFFFF
	s_cmp_lt_u32 s82, s66                                      // 000000007E98: BF0A4252
	s_cselect_b32 s21, s36, s60                                // 000000007E9C: 85153C24
	s_mov_b64 exec, s[20:21]                                   // 000000007EA0: BEFE0114
	global_atomic_add_f32 v6, v169, s[8:9]                     // 000000007EA4: DD348000 0008A906
	global_atomic_add_f32 v6, v173, s[8:9] offset:256          // 000000007EAC: DD348100 0008AD06
	s_mov_b64 exec, s[36:37]                                   // 000000007EB4: BEFE0124
	v_mov_b32_e32 v6, v68                                      // 000000007EB8: 7E0C0344
	s_mov_b64 s[60:61], 0                                      // 000000007EBC: BEBC0180
	v_readlane_b32 s82, v3, 24                                 // 000000007EC0: D2890052 00013103
	s_and_b32 s82, s82, 0xffffff                               // 000000007EC8: 8652FF52 00FFFFFF
	s_cmp_lt_u32 s82, s66                                      // 000000007ED0: BF0A4252
	s_cselect_b32 s20, s36, s60                                // 000000007ED4: 85143C24
	v_readlane_b32 s82, v3, 25                                 // 000000007ED8: D2890052 00013303
	s_and_b32 s82, s82, 0xffffff                               // 000000007EE0: 8652FF52 00FFFFFF
	s_cmp_lt_u32 s82, s66                                      // 000000007EE8: BF0A4252
	s_cselect_b32 s21, s36, s60                                // 000000007EEC: 85153C24
	s_mov_b64 exec, s[20:21]                                   // 000000007EF0: BEFE0114
	global_atomic_add_f32 v6, v176, s[8:9]                     // 000000007EF4: DD348000 0008B006
	global_atomic_add_f32 v6, v180, s[8:9] offset:256          // 000000007EFC: DD348100 0008B406
	s_mov_b64 exec, s[36:37]                                   // 000000007F04: BEFE0124
	v_mov_b32_e32 v6, v69                                      // 000000007F08: 7E0C0345
	s_mov_b64 s[60:61], 0                                      // 000000007F0C: BEBC0180
	v_readlane_b32 s82, v3, 26                                 // 000000007F10: D2890052 00013503
	s_and_b32 s82, s82, 0xffffff                               // 000000007F18: 8652FF52 00FFFFFF
	s_cmp_lt_u32 s82, s66                                      // 000000007F20: BF0A4252
	s_cselect_b32 s20, s36, s60                                // 000000007F24: 85143C24
	v_readlane_b32 s82, v3, 27                                 // 000000007F28: D2890052 00013703
	s_and_b32 s82, s82, 0xffffff                               // 000000007F30: 8652FF52 00FFFFFF
	s_cmp_lt_u32 s82, s66                                      // 000000007F38: BF0A4252
	s_cselect_b32 s21, s36, s60                                // 000000007F3C: 85153C24
	s_mov_b64 exec, s[20:21]                                   // 000000007F40: BEFE0114
	global_atomic_add_f32 v6, v177, s[8:9]                     // 000000007F44: DD348000 0008B106
	global_atomic_add_f32 v6, v181, s[8:9] offset:256          // 000000007F4C: DD348100 0008B506
	s_mov_b64 exec, s[36:37]                                   // 000000007F54: BEFE0124
	ds_write_b64 v20, v[130:131]                               // 000000007F58: D89A0000 00008214
	ds_write_b64 v20, v[134:135] offset:4352                   // 000000007F60: D89A1100 00008614
	ds_write_b64 v20, v[138:139] offset:8704                   // 000000007F68: D89A2200 00008A14
	ds_write_b64 v20, v[142:143] offset:13056                  // 000000007F70: D89A3300 00008E14
	ds_write_b64 v20, v[146:147] offset:17408                  // 000000007F78: D89A4400 00009214
	ds_write_b64 v20, v[150:151] offset:21760                  // 000000007F80: D89A5500 00009614
	ds_write_b64 v20, v[154:155] offset:26112                  // 000000007F88: D89A6600 00009A14
	ds_write_b64 v20, v[158:159] offset:2176                   // 000000007F90: D89A0880 00009E14
	ds_write_b64 v20, v[162:163] offset:6528                   // 000000007F98: D89A1980 0000A214
	ds_write_b64 v20, v[166:167] offset:10880                  // 000000007FA0: D89A2A80 0000A614
	ds_write_b64 v20, v[170:171] offset:15232                  // 000000007FA8: D89A3B80 0000AA14
	ds_write_b64 v20, v[174:175] offset:19584                  // 000000007FB0: D89A4C80 0000AE14
	ds_write_b64 v20, v[178:179] offset:23936                  // 000000007FB8: D89A5D80 0000B214
	ds_write_b64 v20, v[182:183] offset:28288                  // 000000007FC0: D89A6E80 0000B614
	s_waitcnt lgkmcnt(0)                                       // 000000007FC8: BF8CC07F
	s_barrier                                                  // 000000007FCC: BF8A0000
	ds_read_b32 v130, v21                                      // 000000007FD0: D86C0000 82000015
	ds_read_b32 v131, v21 offset:64                            // 000000007FD8: D86C0040 83000015
	ds_read_b32 v134, v21 offset:2176                          // 000000007FE0: D86C0880 86000015
	ds_read_b32 v135, v21 offset:2240                          // 000000007FE8: D86C08C0 87000015
	ds_read_b32 v138, v21 offset:4352                          // 000000007FF0: D86C1100 8A000015
	ds_read_b32 v139, v21 offset:4416                          // 000000007FF8: D86C1140 8B000015
	ds_read_b32 v142, v21 offset:6528                          // 000000008000: D86C1980 8E000015
	ds_read_b32 v143, v21 offset:6592                          // 000000008008: D86C19C0 8F000015
	ds_read_b32 v146, v21 offset:8704                          // 000000008010: D86C2200 92000015
	ds_read_b32 v147, v21 offset:8768                          // 000000008018: D86C2240 93000015
	ds_read_b32 v150, v21 offset:10880                         // 000000008020: D86C2A80 96000015
	ds_read_b32 v151, v21 offset:10944                         // 000000008028: D86C2AC0 97000015
	ds_read_b32 v154, v21 offset:13056                         // 000000008030: D86C3300 9A000015
	ds_read_b32 v155, v21 offset:13120                         // 000000008038: D86C3340 9B000015
	ds_read_b32 v158, v21 offset:15232                         // 000000008040: D86C3B80 9E000015
	ds_read_b32 v159, v21 offset:15296                         // 000000008048: D86C3BC0 9F000015
	ds_read_b32 v162, v21 offset:17408                         // 000000008050: D86C4400 A2000015
	ds_read_b32 v163, v21 offset:17472                         // 000000008058: D86C4440 A3000015
	ds_read_b32 v166, v21 offset:19584                         // 000000008060: D86C4C80 A6000015
	ds_read_b32 v167, v21 offset:19648                         // 000000008068: D86C4CC0 A7000015
	ds_read_b32 v170, v21 offset:21760                         // 000000008070: D86C5500 AA000015
	ds_read_b32 v171, v21 offset:21824                         // 000000008078: D86C5540 AB000015
	ds_read_b32 v174, v21 offset:23936                         // 000000008080: D86C5D80 AE000015
	ds_read_b32 v175, v21 offset:24000                         // 000000008088: D86C5DC0 AF000015
	ds_read_b32 v178, v21 offset:26112                         // 000000008090: D86C6600 B2000015
	ds_read_b32 v179, v21 offset:26176                         // 000000008098: D86C6640 B3000015
	ds_read_b32 v182, v21 offset:28288                         // 0000000080A0: D86C6E80 B6000015
	ds_read_b32 v183, v21 offset:28352                         // 0000000080A8: D86C6EC0 B7000015
	s_waitcnt lgkmcnt(0)                                       // 0000000080B0: BF8CC07F
	v_mov_b32_e32 v7, 0                                        // 0000000080B4: 7E0E0280
	s_mov_b64 exec, s[36:37]                                   // 0000000080B8: BEFE0124
	v_mov_b32_e32 v6, v56                                      // 0000000080BC: 7E0C0338
	s_mov_b64 s[60:61], 0                                      // 0000000080C0: BEBC0180
	v_readlane_b32 s82, v3, 0                                  // 0000000080C4: D2890052 00010103
	s_and_b32 s82, s82, 0xffffff                               // 0000000080CC: 8652FF52 00FFFFFF
	s_cmp_lt_u32 s82, s66                                      // 0000000080D4: BF0A4252
	s_cselect_b32 s20, s36, s60                                // 0000000080D8: 85143C24
	v_readlane_b32 s82, v3, 1                                  // 0000000080DC: D2890052 00010303
	s_and_b32 s82, s82, 0xffffff                               // 0000000080E4: 8652FF52 00FFFFFF
	s_cmp_lt_u32 s82, s66                                      // 0000000080EC: BF0A4252
	s_cselect_b32 s21, s36, s60                                // 0000000080F0: 85153C24
	s_mov_b64 exec, s[20:21]                                   // 0000000080F4: BEFE0114
	global_atomic_add_f32 v6, v130, s[8:9] offset:8            // 0000000080F8: DD348008 00088206
	global_atomic_add_f32 v6, v134, s[8:9] offset:264          // 000000008100: DD348108 00088606
	s_mov_b64 exec, s[36:37]                                   // 000000008108: BEFE0124
	v_mov_b32_e32 v6, v57                                      // 00000000810C: 7E0C0339
	s_mov_b64 s[60:61], 0                                      // 000000008110: BEBC0180
	v_readlane_b32 s82, v3, 2                                  // 000000008114: D2890052 00010503
	s_and_b32 s82, s82, 0xffffff                               // 00000000811C: 8652FF52 00FFFFFF
	s_cmp_lt_u32 s82, s66                                      // 000000008124: BF0A4252
	s_cselect_b32 s20, s36, s60                                // 000000008128: 85143C24
	v_readlane_b32 s82, v3, 3                                  // 00000000812C: D2890052 00010703
	s_and_b32 s82, s82, 0xffffff                               // 000000008134: 8652FF52 00FFFFFF
	s_cmp_lt_u32 s82, s66                                      // 00000000813C: BF0A4252
	s_cselect_b32 s21, s36, s60                                // 000000008140: 85153C24
	s_mov_b64 exec, s[20:21]                                   // 000000008144: BEFE0114
	global_atomic_add_f32 v6, v131, s[8:9] offset:8            // 000000008148: DD348008 00088306
	global_atomic_add_f32 v6, v135, s[8:9] offset:264          // 000000008150: DD348108 00088706
	s_mov_b64 exec, s[36:37]                                   // 000000008158: BEFE0124
	v_mov_b32_e32 v6, v58                                      // 00000000815C: 7E0C033A
	s_mov_b64 s[60:61], 0                                      // 000000008160: BEBC0180
	v_readlane_b32 s82, v3, 4                                  // 000000008164: D2890052 00010903
	s_and_b32 s82, s82, 0xffffff                               // 00000000816C: 8652FF52 00FFFFFF
	s_cmp_lt_u32 s82, s66                                      // 000000008174: BF0A4252
	s_cselect_b32 s20, s36, s60                                // 000000008178: 85143C24
	v_readlane_b32 s82, v3, 5                                  // 00000000817C: D2890052 00010B03
	s_and_b32 s82, s82, 0xffffff                               // 000000008184: 8652FF52 00FFFFFF
	s_cmp_lt_u32 s82, s66                                      // 00000000818C: BF0A4252
	s_cselect_b32 s21, s36, s60                                // 000000008190: 85153C24
	s_mov_b64 exec, s[20:21]                                   // 000000008194: BEFE0114
	global_atomic_add_f32 v6, v138, s[8:9] offset:8            // 000000008198: DD348008 00088A06
	global_atomic_add_f32 v6, v142, s[8:9] offset:264          // 0000000081A0: DD348108 00088E06
	s_mov_b64 exec, s[36:37]                                   // 0000000081A8: BEFE0124
	v_mov_b32_e32 v6, v59                                      // 0000000081AC: 7E0C033B
	s_mov_b64 s[60:61], 0                                      // 0000000081B0: BEBC0180
	v_readlane_b32 s82, v3, 6                                  // 0000000081B4: D2890052 00010D03
	s_and_b32 s82, s82, 0xffffff                               // 0000000081BC: 8652FF52 00FFFFFF
	s_cmp_lt_u32 s82, s66                                      // 0000000081C4: BF0A4252
	s_cselect_b32 s20, s36, s60                                // 0000000081C8: 85143C24
	v_readlane_b32 s82, v3, 7                                  // 0000000081CC: D2890052 00010F03
	s_and_b32 s82, s82, 0xffffff                               // 0000000081D4: 8652FF52 00FFFFFF
	s_cmp_lt_u32 s82, s66                                      // 0000000081DC: BF0A4252
	s_cselect_b32 s21, s36, s60                                // 0000000081E0: 85153C24
	s_mov_b64 exec, s[20:21]                                   // 0000000081E4: BEFE0114
	global_atomic_add_f32 v6, v139, s[8:9] offset:8            // 0000000081E8: DD348008 00088B06
	global_atomic_add_f32 v6, v143, s[8:9] offset:264          // 0000000081F0: DD348108 00088F06
	s_mov_b64 exec, s[36:37]                                   // 0000000081F8: BEFE0124
	v_mov_b32_e32 v6, v60                                      // 0000000081FC: 7E0C033C
	s_mov_b64 s[60:61], 0                                      // 000000008200: BEBC0180
	v_readlane_b32 s82, v3, 8                                  // 000000008204: D2890052 00011103
	s_and_b32 s82, s82, 0xffffff                               // 00000000820C: 8652FF52 00FFFFFF
	s_cmp_lt_u32 s82, s66                                      // 000000008214: BF0A4252
	s_cselect_b32 s20, s36, s60                                // 000000008218: 85143C24
	v_readlane_b32 s82, v3, 9                                  // 00000000821C: D2890052 00011303
	s_and_b32 s82, s82, 0xffffff                               // 000000008224: 8652FF52 00FFFFFF
	s_cmp_lt_u32 s82, s66                                      // 00000000822C: BF0A4252
	s_cselect_b32 s21, s36, s60                                // 000000008230: 85153C24
	s_mov_b64 exec, s[20:21]                                   // 000000008234: BEFE0114
	global_atomic_add_f32 v6, v146, s[8:9] offset:8            // 000000008238: DD348008 00089206
	global_atomic_add_f32 v6, v150, s[8:9] offset:264          // 000000008240: DD348108 00089606
	s_mov_b64 exec, s[36:37]                                   // 000000008248: BEFE0124
	v_mov_b32_e32 v6, v61                                      // 00000000824C: 7E0C033D
	s_mov_b64 s[60:61], 0                                      // 000000008250: BEBC0180
	v_readlane_b32 s82, v3, 10                                 // 000000008254: D2890052 00011503
	s_and_b32 s82, s82, 0xffffff                               // 00000000825C: 8652FF52 00FFFFFF
	s_cmp_lt_u32 s82, s66                                      // 000000008264: BF0A4252
	s_cselect_b32 s20, s36, s60                                // 000000008268: 85143C24
	v_readlane_b32 s82, v3, 11                                 // 00000000826C: D2890052 00011703
	s_and_b32 s82, s82, 0xffffff                               // 000000008274: 8652FF52 00FFFFFF
	s_cmp_lt_u32 s82, s66                                      // 00000000827C: BF0A4252
	s_cselect_b32 s21, s36, s60                                // 000000008280: 85153C24
	s_mov_b64 exec, s[20:21]                                   // 000000008284: BEFE0114
	global_atomic_add_f32 v6, v147, s[8:9] offset:8            // 000000008288: DD348008 00089306
	global_atomic_add_f32 v6, v151, s[8:9] offset:264          // 000000008290: DD348108 00089706
	s_mov_b64 exec, s[36:37]                                   // 000000008298: BEFE0124
	v_mov_b32_e32 v6, v62                                      // 00000000829C: 7E0C033E
	s_mov_b64 s[60:61], 0                                      // 0000000082A0: BEBC0180
	v_readlane_b32 s82, v3, 12                                 // 0000000082A4: D2890052 00011903
	s_and_b32 s82, s82, 0xffffff                               // 0000000082AC: 8652FF52 00FFFFFF
	s_cmp_lt_u32 s82, s66                                      // 0000000082B4: BF0A4252
	s_cselect_b32 s20, s36, s60                                // 0000000082B8: 85143C24
	v_readlane_b32 s82, v3, 13                                 // 0000000082BC: D2890052 00011B03
	s_and_b32 s82, s82, 0xffffff                               // 0000000082C4: 8652FF52 00FFFFFF
	s_cmp_lt_u32 s82, s66                                      // 0000000082CC: BF0A4252
	s_cselect_b32 s21, s36, s60                                // 0000000082D0: 85153C24
	s_mov_b64 exec, s[20:21]                                   // 0000000082D4: BEFE0114
	global_atomic_add_f32 v6, v154, s[8:9] offset:8            // 0000000082D8: DD348008 00089A06
	global_atomic_add_f32 v6, v158, s[8:9] offset:264          // 0000000082E0: DD348108 00089E06
	s_mov_b64 exec, s[36:37]                                   // 0000000082E8: BEFE0124
	v_mov_b32_e32 v6, v63                                      // 0000000082EC: 7E0C033F
	s_mov_b64 s[60:61], 0                                      // 0000000082F0: BEBC0180
	v_readlane_b32 s82, v3, 14                                 // 0000000082F4: D2890052 00011D03
	s_and_b32 s82, s82, 0xffffff                               // 0000000082FC: 8652FF52 00FFFFFF
	s_cmp_lt_u32 s82, s66                                      // 000000008304: BF0A4252
	s_cselect_b32 s20, s36, s60                                // 000000008308: 85143C24
	v_readlane_b32 s82, v3, 15                                 // 00000000830C: D2890052 00011F03
	s_and_b32 s82, s82, 0xffffff                               // 000000008314: 8652FF52 00FFFFFF
	s_cmp_lt_u32 s82, s66                                      // 00000000831C: BF0A4252
	s_cselect_b32 s21, s36, s60                                // 000000008320: 85153C24
	s_mov_b64 exec, s[20:21]                                   // 000000008324: BEFE0114
	global_atomic_add_f32 v6, v155, s[8:9] offset:8            // 000000008328: DD348008 00089B06
	global_atomic_add_f32 v6, v159, s[8:9] offset:264          // 000000008330: DD348108 00089F06
	s_mov_b64 exec, s[36:37]                                   // 000000008338: BEFE0124
	v_mov_b32_e32 v6, v64                                      // 00000000833C: 7E0C0340
	s_mov_b64 s[60:61], 0                                      // 000000008340: BEBC0180
	v_readlane_b32 s82, v3, 16                                 // 000000008344: D2890052 00012103
	s_and_b32 s82, s82, 0xffffff                               // 00000000834C: 8652FF52 00FFFFFF
	s_cmp_lt_u32 s82, s66                                      // 000000008354: BF0A4252
	s_cselect_b32 s20, s36, s60                                // 000000008358: 85143C24
	v_readlane_b32 s82, v3, 17                                 // 00000000835C: D2890052 00012303
	s_and_b32 s82, s82, 0xffffff                               // 000000008364: 8652FF52 00FFFFFF
	s_cmp_lt_u32 s82, s66                                      // 00000000836C: BF0A4252
	s_cselect_b32 s21, s36, s60                                // 000000008370: 85153C24
	s_mov_b64 exec, s[20:21]                                   // 000000008374: BEFE0114
	global_atomic_add_f32 v6, v162, s[8:9] offset:8            // 000000008378: DD348008 0008A206
	global_atomic_add_f32 v6, v166, s[8:9] offset:264          // 000000008380: DD348108 0008A606
	s_mov_b64 exec, s[36:37]                                   // 000000008388: BEFE0124
	v_mov_b32_e32 v6, v65                                      // 00000000838C: 7E0C0341
	s_mov_b64 s[60:61], 0                                      // 000000008390: BEBC0180
	v_readlane_b32 s82, v3, 18                                 // 000000008394: D2890052 00012503
	s_and_b32 s82, s82, 0xffffff                               // 00000000839C: 8652FF52 00FFFFFF
	s_cmp_lt_u32 s82, s66                                      // 0000000083A4: BF0A4252
	s_cselect_b32 s20, s36, s60                                // 0000000083A8: 85143C24
	v_readlane_b32 s82, v3, 19                                 // 0000000083AC: D2890052 00012703
	s_and_b32 s82, s82, 0xffffff                               // 0000000083B4: 8652FF52 00FFFFFF
	s_cmp_lt_u32 s82, s66                                      // 0000000083BC: BF0A4252
	s_cselect_b32 s21, s36, s60                                // 0000000083C0: 85153C24
	s_mov_b64 exec, s[20:21]                                   // 0000000083C4: BEFE0114
	global_atomic_add_f32 v6, v163, s[8:9] offset:8            // 0000000083C8: DD348008 0008A306
	global_atomic_add_f32 v6, v167, s[8:9] offset:264          // 0000000083D0: DD348108 0008A706
	s_mov_b64 exec, s[36:37]                                   // 0000000083D8: BEFE0124
	v_mov_b32_e32 v6, v66                                      // 0000000083DC: 7E0C0342
	s_mov_b64 s[60:61], 0                                      // 0000000083E0: BEBC0180
	v_readlane_b32 s82, v3, 20                                 // 0000000083E4: D2890052 00012903
	s_and_b32 s82, s82, 0xffffff                               // 0000000083EC: 8652FF52 00FFFFFF
	s_cmp_lt_u32 s82, s66                                      // 0000000083F4: BF0A4252
	s_cselect_b32 s20, s36, s60                                // 0000000083F8: 85143C24
	v_readlane_b32 s82, v3, 21                                 // 0000000083FC: D2890052 00012B03
	s_and_b32 s82, s82, 0xffffff                               // 000000008404: 8652FF52 00FFFFFF
	s_cmp_lt_u32 s82, s66                                      // 00000000840C: BF0A4252
	s_cselect_b32 s21, s36, s60                                // 000000008410: 85153C24
	s_mov_b64 exec, s[20:21]                                   // 000000008414: BEFE0114
	global_atomic_add_f32 v6, v170, s[8:9] offset:8            // 000000008418: DD348008 0008AA06
	global_atomic_add_f32 v6, v174, s[8:9] offset:264          // 000000008420: DD348108 0008AE06
	s_mov_b64 exec, s[36:37]                                   // 000000008428: BEFE0124
	v_mov_b32_e32 v6, v67                                      // 00000000842C: 7E0C0343
	s_mov_b64 s[60:61], 0                                      // 000000008430: BEBC0180
	v_readlane_b32 s82, v3, 22                                 // 000000008434: D2890052 00012D03
	s_and_b32 s82, s82, 0xffffff                               // 00000000843C: 8652FF52 00FFFFFF
	s_cmp_lt_u32 s82, s66                                      // 000000008444: BF0A4252
	s_cselect_b32 s20, s36, s60                                // 000000008448: 85143C24
	v_readlane_b32 s82, v3, 23                                 // 00000000844C: D2890052 00012F03
	s_and_b32 s82, s82, 0xffffff                               // 000000008454: 8652FF52 00FFFFFF
	s_cmp_lt_u32 s82, s66                                      // 00000000845C: BF0A4252
	s_cselect_b32 s21, s36, s60                                // 000000008460: 85153C24
	s_mov_b64 exec, s[20:21]                                   // 000000008464: BEFE0114
	global_atomic_add_f32 v6, v171, s[8:9] offset:8            // 000000008468: DD348008 0008AB06
	global_atomic_add_f32 v6, v175, s[8:9] offset:264          // 000000008470: DD348108 0008AF06
	s_mov_b64 exec, s[36:37]                                   // 000000008478: BEFE0124
	v_mov_b32_e32 v6, v68                                      // 00000000847C: 7E0C0344
	s_mov_b64 s[60:61], 0                                      // 000000008480: BEBC0180
	v_readlane_b32 s82, v3, 24                                 // 000000008484: D2890052 00013103
	s_and_b32 s82, s82, 0xffffff                               // 00000000848C: 8652FF52 00FFFFFF
	s_cmp_lt_u32 s82, s66                                      // 000000008494: BF0A4252
	s_cselect_b32 s20, s36, s60                                // 000000008498: 85143C24
	v_readlane_b32 s82, v3, 25                                 // 00000000849C: D2890052 00013303
	s_and_b32 s82, s82, 0xffffff                               // 0000000084A4: 8652FF52 00FFFFFF
	s_cmp_lt_u32 s82, s66                                      // 0000000084AC: BF0A4252
	s_cselect_b32 s21, s36, s60                                // 0000000084B0: 85153C24
	s_mov_b64 exec, s[20:21]                                   // 0000000084B4: BEFE0114
	global_atomic_add_f32 v6, v178, s[8:9] offset:8            // 0000000084B8: DD348008 0008B206
	global_atomic_add_f32 v6, v182, s[8:9] offset:264          // 0000000084C0: DD348108 0008B606
	s_mov_b64 exec, s[36:37]                                   // 0000000084C8: BEFE0124
	v_mov_b32_e32 v6, v69                                      // 0000000084CC: 7E0C0345
	s_mov_b64 s[60:61], 0                                      // 0000000084D0: BEBC0180
	v_readlane_b32 s82, v3, 26                                 // 0000000084D4: D2890052 00013503
	s_and_b32 s82, s82, 0xffffff                               // 0000000084DC: 8652FF52 00FFFFFF
	s_cmp_lt_u32 s82, s66                                      // 0000000084E4: BF0A4252
	s_cselect_b32 s20, s36, s60                                // 0000000084E8: 85143C24
	v_readlane_b32 s82, v3, 27                                 // 0000000084EC: D2890052 00013703
	s_and_b32 s82, s82, 0xffffff                               // 0000000084F4: 8652FF52 00FFFFFF
	s_cmp_lt_u32 s82, s66                                      // 0000000084FC: BF0A4252
	s_cselect_b32 s21, s36, s60                                // 000000008500: 85153C24
	s_mov_b64 exec, s[20:21]                                   // 000000008504: BEFE0114
	global_atomic_add_f32 v6, v179, s[8:9] offset:8            // 000000008508: DD348008 0008B306
	global_atomic_add_f32 v6, v183, s[8:9] offset:264          // 000000008510: DD348108 0008B706
	s_mov_b64 exec, s[36:37]                                   // 000000008518: BEFE0124
	s_branch label_2A32                                        // 00000000851C: BF821367

0000000000008520 <label_16CB>:
	s_waitcnt vmcnt(2) lgkmcnt(0)                              // 000000008520: BF8C0072
	s_barrier                                                  // 000000008524: BF8A0000
	v_mfma_f32_16x16x32_fp8_fp8 v[72:75], a[112:113], a[0:1], v[72:75]// 000000008528: D3F30048 1D220170
	buffer_load_dwordx4 a[128:131], v70, s[84:87], 0 offen     // 000000008530: E05C1000 80958046
	v_mfma_f32_16x16x32_fp8_fp8 v[72:75], a[114:115], a[2:3], v[72:75]// 000000008538: D3F30048 1D220572
	v_mfma_f32_16x16x32_fp8_fp8 v[72:75], a[116:117], a[4:5], v[72:75]// 000000008540: D3F30048 1D220974
	v_mfma_f32_16x16x32_fp8_fp8 v[72:75], a[118:119], a[6:7], v[72:75]// 000000008548: D3F30048 1D220D76
	v_mfma_f32_16x16x32_fp8_fp8 v[76:79], a[112:113], a[8:9], v[76:79]// 000000008550: D3F3004C 1D321170
	buffer_load_dwordx4 a[132:135], v70, s[84:87], 0 offen offset:1024// 000000008558: E05C1400 80958446
	v_mfma_f32_16x16x32_fp8_fp8 v[76:79], a[114:115], a[10:11], v[76:79]// 000000008560: D3F3004C 1D321572
	v_mfma_f32_16x16x32_fp8_fp8 v[76:79], a[116:117], a[12:13], v[76:79]// 000000008568: D3F3004C 1D321974
	v_mfma_f32_16x16x32_fp8_fp8 v[76:79], a[118:119], a[14:15], v[76:79]// 000000008570: D3F3004C 1D321D76
	v_mfma_f32_16x16x32_fp8_fp8 v[80:83], a[112:113], a[16:17], v[80:83]// 000000008578: D3F30050 1D422170
	buffer_load_dwordx4 a[136:139], v71, s[84:87], 0 offen     // 000000008580: E05C1000 80958847
	v_mfma_f32_16x16x32_fp8_fp8 v[80:83], a[114:115], a[18:19], v[80:83]// 000000008588: D3F30050 1D422572
	v_mfma_f32_16x16x32_fp8_fp8 v[80:83], a[116:117], a[20:21], v[80:83]// 000000008590: D3F30050 1D422974
	v_mfma_f32_16x16x32_fp8_fp8 v[80:83], a[118:119], a[22:23], v[80:83]// 000000008598: D3F30050 1D422D76
	v_mfma_f32_16x16x32_fp8_fp8 v[84:87], a[112:113], a[24:25], v[84:87]// 0000000085A0: D3F30054 1D523170
	buffer_load_dwordx4 a[140:143], v71, s[84:87], 0 offen offset:1024// 0000000085A8: E05C1400 80958C47
	buffer_load_dword v56, s[20:23], 0 offen lds               // 0000000085B0: E0511000 80050038
	s_add_u32 m0, 0x100, s48                                   // 0000000085B8: 807C30FF 00000100
	v_mfma_f32_16x16x32_fp8_fp8 v[84:87], a[114:115], a[26:27], v[84:87]// 0000000085C0: D3F30054 1D523572
	v_mfma_f32_16x16x32_fp8_fp8 v[84:87], a[116:117], a[28:29], v[84:87]// 0000000085C8: D3F30054 1D523974
	buffer_load_dword v57, s[20:23], 0 offen lds               // 0000000085D0: E0511000 80050039
	s_add_u32 m0, 0x200, s48                                   // 0000000085D8: 807C30FF 00000200
	v_mfma_f32_16x16x32_fp8_fp8 v[84:87], a[118:119], a[30:31], v[84:87]// 0000000085E0: D3F30054 1D523D76
	v_mfma_f32_16x16x32_fp8_fp8 v[88:91], a[112:113], a[32:33], v[88:91]// 0000000085E8: D3F30058 1D624170
	buffer_load_dword v58, s[20:23], 0 offen lds               // 0000000085F0: E0511000 8005003A
	s_add_u32 m0, 0x300, s48                                   // 0000000085F8: 807C30FF 00000300
	v_mfma_f32_16x16x32_fp8_fp8 v[88:91], a[114:115], a[34:35], v[88:91]// 000000008600: D3F30058 1D624572
	v_mfma_f32_16x16x32_fp8_fp8 v[88:91], a[116:117], a[36:37], v[88:91]// 000000008608: D3F30058 1D624974
	buffer_load_dword v59, s[20:23], 0 offen lds               // 000000008610: E0511000 8005003B
	s_add_u32 m0, 0x400, s48                                   // 000000008618: 807C30FF 00000400
	v_mfma_f32_16x16x32_fp8_fp8 v[88:91], a[118:119], a[38:39], v[88:91]// 000000008620: D3F30058 1D624D76
	v_mfma_f32_16x16x32_fp8_fp8 v[92:95], a[112:113], a[40:41], v[92:95]// 000000008628: D3F3005C 1D725170
	buffer_load_dword v60, s[20:23], 0 offen lds               // 000000008630: E0511000 8005003C
	s_add_u32 m0, 0x500, s48                                   // 000000008638: 807C30FF 00000500
	v_mfma_f32_16x16x32_fp8_fp8 v[92:95], a[114:115], a[42:43], v[92:95]// 000000008640: D3F3005C 1D725572
	v_mfma_f32_16x16x32_fp8_fp8 v[92:95], a[116:117], a[44:45], v[92:95]// 000000008648: D3F3005C 1D725974
	buffer_load_dword v61, s[20:23], 0 offen lds               // 000000008650: E0511000 8005003D
	s_add_u32 m0, 0x600, s48                                   // 000000008658: 807C30FF 00000600
	v_mfma_f32_16x16x32_fp8_fp8 v[92:95], a[118:119], a[46:47], v[92:95]// 000000008660: D3F3005C 1D725D76
	v_mfma_f32_16x16x32_fp8_fp8 v[96:99], a[112:113], a[48:49], v[96:99]// 000000008668: D3F30060 1D826170
	buffer_load_dword v62, s[20:23], 0 offen lds               // 000000008670: E0511000 8005003E
	s_add_u32 m0, 0x700, s48                                   // 000000008678: 807C30FF 00000700
	v_mfma_f32_16x16x32_fp8_fp8 v[96:99], a[114:115], a[50:51], v[96:99]// 000000008680: D3F30060 1D826572
	v_mfma_f32_16x16x32_fp8_fp8 v[96:99], a[116:117], a[52:53], v[96:99]// 000000008688: D3F30060 1D826974
	buffer_load_dword v63, s[20:23], 0 offen lds               // 000000008690: E0511000 8005003F
	s_add_u32 m0, 0x800, s48                                   // 000000008698: 807C30FF 00000800
	v_mfma_f32_16x16x32_fp8_fp8 v[96:99], a[118:119], a[54:55], v[96:99]// 0000000086A0: D3F30060 1D826D76
	s_waitcnt vmcnt(12)                                        // 0000000086A8: BF8C0F7C
	v_mfma_f32_16x16x32_fp8_fp8 v[100:103], a[120:121], a[0:1], v[100:103]// 0000000086AC: D3F30064 1D920178
	buffer_load_dword v64, s[20:23], 0 offen lds               // 0000000086B4: E0511000 80050040
	s_add_u32 m0, 0x900, s48                                   // 0000000086BC: 807C30FF 00000900
	v_mfma_f32_16x16x32_fp8_fp8 v[100:103], a[122:123], a[2:3], v[100:103]// 0000000086C4: D3F30064 1D92057A
	v_mfma_f32_16x16x32_fp8_fp8 v[100:103], a[124:125], a[4:5], v[100:103]// 0000000086CC: D3F30064 1D92097C
	buffer_load_dword v65, s[20:23], 0 offen lds               // 0000000086D4: E0511000 80050041
	s_add_u32 m0, 0xa00, s48                                   // 0000000086DC: 807C30FF 00000A00
	v_mfma_f32_16x16x32_fp8_fp8 v[100:103], a[126:127], a[6:7], v[100:103]// 0000000086E4: D3F30064 1D920D7E
	v_mfma_f32_16x16x32_fp8_fp8 v[104:107], a[120:121], a[8:9], v[104:107]// 0000000086EC: D3F30068 1DA21178
	buffer_load_dword v66, s[20:23], 0 offen lds               // 0000000086F4: E0511000 80050042
	s_add_u32 m0, 0xb00, s48                                   // 0000000086FC: 807C30FF 00000B00
	v_mfma_f32_16x16x32_fp8_fp8 v[104:107], a[122:123], a[10:11], v[104:107]// 000000008704: D3F30068 1DA2157A
	v_mfma_f32_16x16x32_fp8_fp8 v[104:107], a[124:125], a[12:13], v[104:107]// 00000000870C: D3F30068 1DA2197C
	buffer_load_dword v67, s[20:23], 0 offen lds               // 000000008714: E0511000 80050043
	s_add_u32 m0, 0xc00, s48                                   // 00000000871C: 807C30FF 00000C00
	v_mfma_f32_16x16x32_fp8_fp8 v[104:107], a[126:127], a[14:15], v[104:107]// 000000008724: D3F30068 1DA21D7E
	v_mfma_f32_16x16x32_fp8_fp8 v[108:111], a[120:121], a[16:17], v[108:111]// 00000000872C: D3F3006C 1DB22178
	buffer_load_dword v68, s[20:23], 0 offen lds               // 000000008734: E0511000 80050044
	s_add_u32 m0, 0xd00, s48                                   // 00000000873C: 807C30FF 00000D00
	v_mfma_f32_16x16x32_fp8_fp8 v[108:111], a[122:123], a[18:19], v[108:111]// 000000008744: D3F3006C 1DB2257A
	v_mfma_f32_16x16x32_fp8_fp8 v[108:111], a[124:125], a[20:21], v[108:111]// 00000000874C: D3F3006C 1DB2297C
	buffer_load_dword v69, s[20:23], 0 offen lds               // 000000008754: E0511000 80050045
	s_add_u32 m0, 0, s49                                       // 00000000875C: 807C3180
	v_mfma_f32_16x16x32_fp8_fp8 v[108:111], a[126:127], a[22:23], v[108:111]// 000000008760: D3F3006C 1DB22D7E
	v_mfma_f32_16x16x32_fp8_fp8 v[112:115], a[120:121], a[24:25], v[112:115]// 000000008768: D3F30070 1DC23178
	v_mfma_f32_16x16x32_fp8_fp8 v[112:115], a[122:123], a[26:27], v[112:115]// 000000008770: D3F30070 1DC2357A
	v_mfma_f32_16x16x32_fp8_fp8 v[112:115], a[124:125], a[28:29], v[112:115]// 000000008778: D3F30070 1DC2397C
	v_mfma_f32_16x16x32_fp8_fp8 v[112:115], a[126:127], a[30:31], v[112:115]// 000000008780: D3F30070 1DC23D7E
	v_mfma_f32_16x16x32_fp8_fp8 v[116:119], a[120:121], a[32:33], v[116:119]// 000000008788: D3F30074 1DD24178
	v_mfma_f32_16x16x32_fp8_fp8 v[116:119], a[122:123], a[34:35], v[116:119]// 000000008790: D3F30074 1DD2457A
	v_mfma_f32_16x16x32_fp8_fp8 v[116:119], a[124:125], a[36:37], v[116:119]// 000000008798: D3F30074 1DD2497C
	v_mfma_f32_16x16x32_fp8_fp8 v[116:119], a[126:127], a[38:39], v[116:119]// 0000000087A0: D3F30074 1DD24D7E
	v_mfma_f32_16x16x32_fp8_fp8 v[120:123], a[120:121], a[40:41], v[120:123]// 0000000087A8: D3F30078 1DE25178
	v_mfma_f32_16x16x32_fp8_fp8 v[120:123], a[122:123], a[42:43], v[120:123]// 0000000087B0: D3F30078 1DE2557A
	v_mfma_f32_16x16x32_fp8_fp8 v[120:123], a[124:125], a[44:45], v[120:123]// 0000000087B8: D3F30078 1DE2597C
	v_mfma_f32_16x16x32_fp8_fp8 v[120:123], a[126:127], a[46:47], v[120:123]// 0000000087C0: D3F30078 1DE25D7E
	v_mfma_f32_16x16x32_fp8_fp8 v[124:127], a[120:121], a[48:49], v[124:127]// 0000000087C8: D3F3007C 1DF26178
	v_mfma_f32_16x16x32_fp8_fp8 v[124:127], a[122:123], a[50:51], v[124:127]// 0000000087D0: D3F3007C 1DF2657A
	s_add_u32 s60, 0x80, s80                                   // 0000000087D8: 803C50FF 00000080
	s_cmp_lt_u32 s60, s81                                      // 0000000087E0: BF0A513C
	s_cselect_b32 s83, s83, 0                                  // 0000000087E4: 85538053
	v_mfma_f32_16x16x32_fp8_fp8 v[124:127], a[124:125], a[52:53], v[124:127]// 0000000087E8: D3F3007C 1DF2697C
	v_mfma_f32_16x16x32_fp8_fp8 v[124:127], a[126:127], a[54:55], v[124:127]// 0000000087F0: D3F3007C 1DF26D7E
	s_waitcnt vmcnt(14)                                        // 0000000087F8: BF8C0F7E
	v_mfma_f32_16x16x32_fp8_fp8 v[128:131], a[128:129], a[0:1], v[128:131]// 0000000087FC: D3F30080 1E020180
	buffer_load_dwordx4 a[112:115], v70, s[24:27], 0 offen     // 000000008804: E05C1000 80867046
	v_mfma_f32_16x16x32_fp8_fp8 v[128:131], a[130:131], a[2:3], v[128:131]// 00000000880C: D3F30080 1E020582
	v_mfma_f32_16x16x32_fp8_fp8 v[128:131], a[132:133], a[4:5], v[128:131]// 000000008814: D3F30080 1E020984
	ds_read_b128 a[56:59], v2 offset:14464                     // 00000000881C: DBFE3880 38000002
	ds_read_b128 a[60:63], v2 offset:14528                     // 000000008824: DBFE38C0 3C000002
	v_mfma_f32_16x16x32_fp8_fp8 v[128:131], a[134:135], a[6:7], v[128:131]// 00000000882C: D3F30080 1E020D86
	v_mfma_f32_16x16x32_fp8_fp8 v[156:159], a[136:137], a[0:1], v[156:159]// 000000008834: D3F3009C 1E720188
	buffer_load_dwordx4 a[116:119], v70, s[24:27], 0 offen offset:1024// 00000000883C: E05C1400 80867446
	v_mfma_f32_16x16x32_fp8_fp8 v[156:159], a[138:139], a[2:3], v[156:159]// 000000008844: D3F3009C 1E72058A
	v_mfma_f32_16x16x32_fp8_fp8 v[156:159], a[140:141], a[4:5], v[156:159]// 00000000884C: D3F3009C 1E72098C
	ds_read_b128 a[64:67], v2 offset:14976                     // 000000008854: DBFE3A80 40000002
	ds_read_b128 a[68:71], v2 offset:15040                     // 00000000885C: DBFE3AC0 44000002
	v_mfma_f32_16x16x32_fp8_fp8 v[156:159], a[142:143], a[6:7], v[156:159]// 000000008864: D3F3009C 1E720D8E
	v_mfma_f32_16x16x32_fp8_fp8 v[132:135], a[128:129], a[8:9], v[132:135]// 00000000886C: D3F30084 1E121180
	buffer_load_dwordx4 a[120:123], v71, s[24:27], 0 offen     // 000000008874: E05C1000 80867847
	v_mfma_f32_16x16x32_fp8_fp8 v[132:135], a[130:131], a[10:11], v[132:135]// 00000000887C: D3F30084 1E121582
	v_mfma_f32_16x16x32_fp8_fp8 v[132:135], a[132:133], a[12:13], v[132:135]// 000000008884: D3F30084 1E121984
	ds_read_b128 a[72:75], v2 offset:15488                     // 00000000888C: DBFE3C80 48000002
	ds_read_b128 a[76:79], v2 offset:15552                     // 000000008894: DBFE3CC0 4C000002
	v_mfma_f32_16x16x32_fp8_fp8 v[132:135], a[134:135], a[14:15], v[132:135]// 00000000889C: D3F30084 1E121D86
	v_mfma_f32_16x16x32_fp8_fp8 v[160:163], a[136:137], a[8:9], v[160:163]// 0000000088A4: D3F300A0 1E821188
	buffer_load_dwordx4 a[124:127], v71, s[24:27], 0 offen offset:1024// 0000000088AC: E05C1400 80867C47
	v_mfma_f32_16x16x32_fp8_fp8 v[160:163], a[138:139], a[10:11], v[160:163]// 0000000088B4: D3F300A0 1E82158A
	v_mfma_f32_16x16x32_fp8_fp8 v[160:163], a[140:141], a[12:13], v[160:163]// 0000000088BC: D3F300A0 1E82198C
	ds_read_b128 a[80:83], v2 offset:16000                     // 0000000088C4: DBFE3E80 50000002
	ds_read_b128 a[84:87], v2 offset:16064                     // 0000000088CC: DBFE3EC0 54000002
	v_mfma_f32_16x16x32_fp8_fp8 v[160:163], a[142:143], a[14:15], v[160:163]// 0000000088D4: D3F300A0 1E821D8E
	v_mfma_f32_16x16x32_fp8_fp8 v[136:139], a[128:129], a[16:17], v[136:139]// 0000000088DC: D3F30088 1E222180
	v_mfma_f32_16x16x32_fp8_fp8 v[136:139], a[130:131], a[18:19], v[136:139]// 0000000088E4: D3F30088 1E222582
	v_mfma_f32_16x16x32_fp8_fp8 v[136:139], a[132:133], a[20:21], v[136:139]// 0000000088EC: D3F30088 1E222984
	ds_read_b128 a[88:91], v2 offset:16512                     // 0000000088F4: DBFE4080 58000002
	ds_read_b128 a[92:95], v2 offset:16576                     // 0000000088FC: DBFE40C0 5C000002
	v_mfma_f32_16x16x32_fp8_fp8 v[136:139], a[134:135], a[22:23], v[136:139]// 000000008904: D3F30088 1E222D86
	v_mfma_f32_16x16x32_fp8_fp8 v[164:167], a[136:137], a[16:17], v[164:167]// 00000000890C: D3F300A4 1E922188
	v_mfma_f32_16x16x32_fp8_fp8 v[164:167], a[138:139], a[18:19], v[164:167]// 000000008914: D3F300A4 1E92258A
	v_mfma_f32_16x16x32_fp8_fp8 v[164:167], a[140:141], a[20:21], v[164:167]// 00000000891C: D3F300A4 1E92298C
	ds_read_b128 a[96:99], v2 offset:17024                     // 000000008924: DBFE4280 60000002
	ds_read_b128 a[100:103], v2 offset:17088                   // 00000000892C: DBFE42C0 64000002
	v_mfma_f32_16x16x32_fp8_fp8 v[164:167], a[142:143], a[22:23], v[164:167]// 000000008934: D3F300A4 1E922D8E
	v_mfma_f32_16x16x32_fp8_fp8 v[140:143], a[128:129], a[24:25], v[140:143]// 00000000893C: D3F3008C 1E323180
	v_mfma_f32_16x16x32_fp8_fp8 v[140:143], a[130:131], a[26:27], v[140:143]// 000000008944: D3F3008C 1E323582
	v_mfma_f32_16x16x32_fp8_fp8 v[140:143], a[132:133], a[28:29], v[140:143]// 00000000894C: D3F3008C 1E323984
	ds_read_b128 a[104:107], v2 offset:17536                   // 000000008954: DBFE4480 68000002
	ds_read_b128 a[108:111], v2 offset:17600                   // 00000000895C: DBFE44C0 6C000002
	v_mfma_f32_16x16x32_fp8_fp8 v[140:143], a[134:135], a[30:31], v[140:143]// 000000008964: D3F3008C 1E323D86
	v_mfma_f32_16x16x32_fp8_fp8 v[168:171], a[136:137], a[24:25], v[168:171]// 00000000896C: D3F300A8 1EA23188
	v_mfma_f32_16x16x32_fp8_fp8 v[168:171], a[138:139], a[26:27], v[168:171]// 000000008974: D3F300A8 1EA2358A
	v_mfma_f32_16x16x32_fp8_fp8 v[168:171], a[140:141], a[28:29], v[168:171]// 00000000897C: D3F300A8 1EA2398C
	v_mfma_f32_16x16x32_fp8_fp8 v[168:171], a[142:143], a[30:31], v[168:171]// 000000008984: D3F300A8 1EA23D8E
	v_mfma_f32_16x16x32_fp8_fp8 v[144:147], a[128:129], a[32:33], v[144:147]// 00000000898C: D3F30090 1E424180
	v_mfma_f32_16x16x32_fp8_fp8 v[144:147], a[130:131], a[34:35], v[144:147]// 000000008994: D3F30090 1E424582
	v_mfma_f32_16x16x32_fp8_fp8 v[144:147], a[132:133], a[36:37], v[144:147]// 00000000899C: D3F30090 1E424984
	v_mfma_f32_16x16x32_fp8_fp8 v[144:147], a[134:135], a[38:39], v[144:147]// 0000000089A4: D3F30090 1E424D86
	v_mfma_f32_16x16x32_fp8_fp8 v[172:175], a[136:137], a[32:33], v[172:175]// 0000000089AC: D3F300AC 1EB24188
	v_mfma_f32_16x16x32_fp8_fp8 v[172:175], a[138:139], a[34:35], v[172:175]// 0000000089B4: D3F300AC 1EB2458A
	v_mfma_f32_16x16x32_fp8_fp8 v[172:175], a[140:141], a[36:37], v[172:175]// 0000000089BC: D3F300AC 1EB2498C
	v_mfma_f32_16x16x32_fp8_fp8 v[172:175], a[142:143], a[38:39], v[172:175]// 0000000089C4: D3F300AC 1EB24D8E
	v_mfma_f32_16x16x32_fp8_fp8 v[148:151], a[128:129], a[40:41], v[148:151]// 0000000089CC: D3F30094 1E525180
	v_mfma_f32_16x16x32_fp8_fp8 v[148:151], a[130:131], a[42:43], v[148:151]// 0000000089D4: D3F30094 1E525582
	v_mfma_f32_16x16x32_fp8_fp8 v[148:151], a[132:133], a[44:45], v[148:151]// 0000000089DC: D3F30094 1E525984
	v_mfma_f32_16x16x32_fp8_fp8 v[148:151], a[134:135], a[46:47], v[148:151]// 0000000089E4: D3F30094 1E525D86
	v_mfma_f32_16x16x32_fp8_fp8 v[176:179], a[136:137], a[40:41], v[176:179]// 0000000089EC: D3F300B0 1EC25188
	v_mfma_f32_16x16x32_fp8_fp8 v[176:179], a[138:139], a[42:43], v[176:179]// 0000000089F4: D3F300B0 1EC2558A
	v_mfma_f32_16x16x32_fp8_fp8 v[176:179], a[140:141], a[44:45], v[176:179]// 0000000089FC: D3F300B0 1EC2598C
	v_mfma_f32_16x16x32_fp8_fp8 v[176:179], a[142:143], a[46:47], v[176:179]// 000000008A04: D3F300B0 1EC25D8E
	v_mfma_f32_16x16x32_fp8_fp8 v[152:155], a[128:129], a[48:49], v[152:155]// 000000008A0C: D3F30098 1E626180
	v_mfma_f32_16x16x32_fp8_fp8 v[152:155], a[130:131], a[50:51], v[152:155]// 000000008A14: D3F30098 1E626582
	v_mfma_f32_16x16x32_fp8_fp8 v[152:155], a[132:133], a[52:53], v[152:155]// 000000008A1C: D3F30098 1E626984
	s_add_u32 s60, 0x180, s80                                  // 000000008A24: 803C50FF 00000180
	s_cmp_lt_u32 s60, s81                                      // 000000008A2C: BF0A513C
	s_cselect_b32 s57, s57, 0                                  // 000000008A30: 85398039
	v_mfma_f32_16x16x32_fp8_fp8 v[152:155], a[134:135], a[54:55], v[152:155]// 000000008A34: D3F30098 1E626D86
	s_add_u32 s60, 0x100, s80                                  // 000000008A3C: 803C50FF 00000100
	s_cmp_lt_u32 s60, s81                                      // 000000008A44: BF0A513C
	s_cselect_b32 s58, s58, 0                                  // 000000008A48: 853A803A
	v_mfma_f32_16x16x32_fp8_fp8 v[180:183], a[136:137], a[48:49], v[180:183]// 000000008A4C: D3F300B4 1ED26188
	s_add_u32 s24, s58, s24                                    // 000000008A54: 8018183A
	s_addc_u32 s25, 0, s25                                     // 000000008A58: 82191980
	v_mfma_f32_16x16x32_fp8_fp8 v[180:183], a[138:139], a[50:51], v[180:183]// 000000008A5C: D3F300B4 1ED2658A
	s_add_u32 s20, s57, s20                                    // 000000008A64: 80141439
	s_addc_u32 s21, 0, s21                                     // 000000008A68: 82151580
	v_mfma_f32_16x16x32_fp8_fp8 v[180:183], a[140:141], a[52:53], v[180:183]// 000000008A6C: D3F300B4 1ED2698C
	s_add_u32 s84, s83, s84                                    // 000000008A74: 80545453
	s_addc_u32 s85, 0, s85                                     // 000000008A78: 82555580
	v_mfma_f32_16x16x32_fp8_fp8 v[180:183], a[142:143], a[54:55], v[180:183]// 000000008A7C: D3F300B4 1ED26D8E
	s_addk_i32 s80, 0x80                                       // 000000008A84: B7500080
	s_cmp_lt_i32 s80, s81                                      // 000000008A88: BF045150
	s_cbranch_scc0 label_1984                                  // 000000008A8C: BF84015D
	s_waitcnt vmcnt(2) lgkmcnt(0)                              // 000000008A90: BF8C0072
	s_barrier                                                  // 000000008A94: BF8A0000
	v_mfma_f32_16x16x32_fp8_fp8 v[72:75], a[112:113], a[56:57], v[72:75]// 000000008A98: D3F30048 1D227170
	buffer_load_dwordx4 a[128:131], v70, s[84:87], 0 offen     // 000000008AA0: E05C1000 80958046
	v_mfma_f32_16x16x32_fp8_fp8 v[72:75], a[114:115], a[58:59], v[72:75]// 000000008AA8: D3F30048 1D227572
	v_mfma_f32_16x16x32_fp8_fp8 v[72:75], a[116:117], a[60:61], v[72:75]// 000000008AB0: D3F30048 1D227974
	v_mfma_f32_16x16x32_fp8_fp8 v[72:75], a[118:119], a[62:63], v[72:75]// 000000008AB8: D3F30048 1D227D76
	v_mfma_f32_16x16x32_fp8_fp8 v[76:79], a[112:113], a[64:65], v[76:79]// 000000008AC0: D3F3004C 1D328170
	buffer_load_dwordx4 a[132:135], v70, s[84:87], 0 offen offset:1024// 000000008AC8: E05C1400 80958446
	v_mfma_f32_16x16x32_fp8_fp8 v[76:79], a[114:115], a[66:67], v[76:79]// 000000008AD0: D3F3004C 1D328572
	v_mfma_f32_16x16x32_fp8_fp8 v[76:79], a[116:117], a[68:69], v[76:79]// 000000008AD8: D3F3004C 1D328974
	v_mfma_f32_16x16x32_fp8_fp8 v[76:79], a[118:119], a[70:71], v[76:79]// 000000008AE0: D3F3004C 1D328D76
	v_mfma_f32_16x16x32_fp8_fp8 v[80:83], a[112:113], a[72:73], v[80:83]// 000000008AE8: D3F30050 1D429170
	buffer_load_dwordx4 a[136:139], v71, s[84:87], 0 offen     // 000000008AF0: E05C1000 80958847
	v_mfma_f32_16x16x32_fp8_fp8 v[80:83], a[114:115], a[74:75], v[80:83]// 000000008AF8: D3F30050 1D429572
	v_mfma_f32_16x16x32_fp8_fp8 v[80:83], a[116:117], a[76:77], v[80:83]// 000000008B00: D3F30050 1D429974
	v_mfma_f32_16x16x32_fp8_fp8 v[80:83], a[118:119], a[78:79], v[80:83]// 000000008B08: D3F30050 1D429D76
	v_mfma_f32_16x16x32_fp8_fp8 v[84:87], a[112:113], a[80:81], v[84:87]// 000000008B10: D3F30054 1D52A170
	buffer_load_dwordx4 a[140:143], v71, s[84:87], 0 offen offset:1024// 000000008B18: E05C1400 80958C47
	buffer_load_dword v56, s[20:23], 0 offen lds               // 000000008B20: E0511000 80050038
	s_add_u32 m0, 0x100, s49                                   // 000000008B28: 807C31FF 00000100
	v_mfma_f32_16x16x32_fp8_fp8 v[84:87], a[114:115], a[82:83], v[84:87]// 000000008B30: D3F30054 1D52A572
	v_mfma_f32_16x16x32_fp8_fp8 v[84:87], a[116:117], a[84:85], v[84:87]// 000000008B38: D3F30054 1D52A974
	buffer_load_dword v57, s[20:23], 0 offen lds               // 000000008B40: E0511000 80050039
	s_add_u32 m0, 0x200, s49                                   // 000000008B48: 807C31FF 00000200
	v_mfma_f32_16x16x32_fp8_fp8 v[84:87], a[118:119], a[86:87], v[84:87]// 000000008B50: D3F30054 1D52AD76
	v_mfma_f32_16x16x32_fp8_fp8 v[88:91], a[112:113], a[88:89], v[88:91]// 000000008B58: D3F30058 1D62B170
	buffer_load_dword v58, s[20:23], 0 offen lds               // 000000008B60: E0511000 8005003A
	s_add_u32 m0, 0x300, s49                                   // 000000008B68: 807C31FF 00000300
	v_mfma_f32_16x16x32_fp8_fp8 v[88:91], a[114:115], a[90:91], v[88:91]// 000000008B70: D3F30058 1D62B572
	v_mfma_f32_16x16x32_fp8_fp8 v[88:91], a[116:117], a[92:93], v[88:91]// 000000008B78: D3F30058 1D62B974
	buffer_load_dword v59, s[20:23], 0 offen lds               // 000000008B80: E0511000 8005003B
	s_add_u32 m0, 0x400, s49                                   // 000000008B88: 807C31FF 00000400
	v_mfma_f32_16x16x32_fp8_fp8 v[88:91], a[118:119], a[94:95], v[88:91]// 000000008B90: D3F30058 1D62BD76
	v_mfma_f32_16x16x32_fp8_fp8 v[92:95], a[112:113], a[96:97], v[92:95]// 000000008B98: D3F3005C 1D72C170
	buffer_load_dword v60, s[20:23], 0 offen lds               // 000000008BA0: E0511000 8005003C
	s_add_u32 m0, 0x500, s49                                   // 000000008BA8: 807C31FF 00000500
	v_mfma_f32_16x16x32_fp8_fp8 v[92:95], a[114:115], a[98:99], v[92:95]// 000000008BB0: D3F3005C 1D72C572
	v_mfma_f32_16x16x32_fp8_fp8 v[92:95], a[116:117], a[100:101], v[92:95]// 000000008BB8: D3F3005C 1D72C974
	buffer_load_dword v61, s[20:23], 0 offen lds               // 000000008BC0: E0511000 8005003D
	s_add_u32 m0, 0x600, s49                                   // 000000008BC8: 807C31FF 00000600
	v_mfma_f32_16x16x32_fp8_fp8 v[92:95], a[118:119], a[102:103], v[92:95]// 000000008BD0: D3F3005C 1D72CD76
	v_mfma_f32_16x16x32_fp8_fp8 v[96:99], a[112:113], a[104:105], v[96:99]// 000000008BD8: D3F30060 1D82D170
	buffer_load_dword v62, s[20:23], 0 offen lds               // 000000008BE0: E0511000 8005003E
	s_add_u32 m0, 0x700, s49                                   // 000000008BE8: 807C31FF 00000700
	v_mfma_f32_16x16x32_fp8_fp8 v[96:99], a[114:115], a[106:107], v[96:99]// 000000008BF0: D3F30060 1D82D572
	v_mfma_f32_16x16x32_fp8_fp8 v[96:99], a[116:117], a[108:109], v[96:99]// 000000008BF8: D3F30060 1D82D974
	buffer_load_dword v63, s[20:23], 0 offen lds               // 000000008C00: E0511000 8005003F
	s_add_u32 m0, 0x800, s49                                   // 000000008C08: 807C31FF 00000800
	v_mfma_f32_16x16x32_fp8_fp8 v[96:99], a[118:119], a[110:111], v[96:99]// 000000008C10: D3F30060 1D82DD76
	s_waitcnt vmcnt(12)                                        // 000000008C18: BF8C0F7C
	v_mfma_f32_16x16x32_fp8_fp8 v[100:103], a[120:121], a[56:57], v[100:103]// 000000008C1C: D3F30064 1D927178
	buffer_load_dword v64, s[20:23], 0 offen lds               // 000000008C24: E0511000 80050040
	s_add_u32 m0, 0x900, s49                                   // 000000008C2C: 807C31FF 00000900
	v_mfma_f32_16x16x32_fp8_fp8 v[100:103], a[122:123], a[58:59], v[100:103]// 000000008C34: D3F30064 1D92757A
	v_mfma_f32_16x16x32_fp8_fp8 v[100:103], a[124:125], a[60:61], v[100:103]// 000000008C3C: D3F30064 1D92797C
	buffer_load_dword v65, s[20:23], 0 offen lds               // 000000008C44: E0511000 80050041
	s_add_u32 m0, 0xa00, s49                                   // 000000008C4C: 807C31FF 00000A00
	v_mfma_f32_16x16x32_fp8_fp8 v[100:103], a[126:127], a[62:63], v[100:103]// 000000008C54: D3F30064 1D927D7E
	v_mfma_f32_16x16x32_fp8_fp8 v[104:107], a[120:121], a[64:65], v[104:107]// 000000008C5C: D3F30068 1DA28178
	buffer_load_dword v66, s[20:23], 0 offen lds               // 000000008C64: E0511000 80050042
	s_add_u32 m0, 0xb00, s49                                   // 000000008C6C: 807C31FF 00000B00
	v_mfma_f32_16x16x32_fp8_fp8 v[104:107], a[122:123], a[66:67], v[104:107]// 000000008C74: D3F30068 1DA2857A
	v_mfma_f32_16x16x32_fp8_fp8 v[104:107], a[124:125], a[68:69], v[104:107]// 000000008C7C: D3F30068 1DA2897C
	buffer_load_dword v67, s[20:23], 0 offen lds               // 000000008C84: E0511000 80050043
	s_add_u32 m0, 0xc00, s49                                   // 000000008C8C: 807C31FF 00000C00
	v_mfma_f32_16x16x32_fp8_fp8 v[104:107], a[126:127], a[70:71], v[104:107]// 000000008C94: D3F30068 1DA28D7E
	v_mfma_f32_16x16x32_fp8_fp8 v[108:111], a[120:121], a[72:73], v[108:111]// 000000008C9C: D3F3006C 1DB29178
	buffer_load_dword v68, s[20:23], 0 offen lds               // 000000008CA4: E0511000 80050044
	s_add_u32 m0, 0xd00, s49                                   // 000000008CAC: 807C31FF 00000D00
	v_mfma_f32_16x16x32_fp8_fp8 v[108:111], a[122:123], a[74:75], v[108:111]// 000000008CB4: D3F3006C 1DB2957A
	v_mfma_f32_16x16x32_fp8_fp8 v[108:111], a[124:125], a[76:77], v[108:111]// 000000008CBC: D3F3006C 1DB2997C
	buffer_load_dword v69, s[20:23], 0 offen lds               // 000000008CC4: E0511000 80050045
	s_add_u32 m0, 0, s48                                       // 000000008CCC: 807C3080
	v_mfma_f32_16x16x32_fp8_fp8 v[108:111], a[126:127], a[78:79], v[108:111]// 000000008CD0: D3F3006C 1DB29D7E
	v_mfma_f32_16x16x32_fp8_fp8 v[112:115], a[120:121], a[80:81], v[112:115]// 000000008CD8: D3F30070 1DC2A178
	v_mfma_f32_16x16x32_fp8_fp8 v[112:115], a[122:123], a[82:83], v[112:115]// 000000008CE0: D3F30070 1DC2A57A
	v_mfma_f32_16x16x32_fp8_fp8 v[112:115], a[124:125], a[84:85], v[112:115]// 000000008CE8: D3F30070 1DC2A97C
	v_mfma_f32_16x16x32_fp8_fp8 v[112:115], a[126:127], a[86:87], v[112:115]// 000000008CF0: D3F30070 1DC2AD7E
	v_mfma_f32_16x16x32_fp8_fp8 v[116:119], a[120:121], a[88:89], v[116:119]// 000000008CF8: D3F30074 1DD2B178
	v_mfma_f32_16x16x32_fp8_fp8 v[116:119], a[122:123], a[90:91], v[116:119]// 000000008D00: D3F30074 1DD2B57A
	v_mfma_f32_16x16x32_fp8_fp8 v[116:119], a[124:125], a[92:93], v[116:119]// 000000008D08: D3F30074 1DD2B97C
	v_mfma_f32_16x16x32_fp8_fp8 v[116:119], a[126:127], a[94:95], v[116:119]// 000000008D10: D3F30074 1DD2BD7E
	v_mfma_f32_16x16x32_fp8_fp8 v[120:123], a[120:121], a[96:97], v[120:123]// 000000008D18: D3F30078 1DE2C178
	v_mfma_f32_16x16x32_fp8_fp8 v[120:123], a[122:123], a[98:99], v[120:123]// 000000008D20: D3F30078 1DE2C57A
	v_mfma_f32_16x16x32_fp8_fp8 v[120:123], a[124:125], a[100:101], v[120:123]// 000000008D28: D3F30078 1DE2C97C
	v_mfma_f32_16x16x32_fp8_fp8 v[120:123], a[126:127], a[102:103], v[120:123]// 000000008D30: D3F30078 1DE2CD7E
	v_mfma_f32_16x16x32_fp8_fp8 v[124:127], a[120:121], a[104:105], v[124:127]// 000000008D38: D3F3007C 1DF2D178
	v_mfma_f32_16x16x32_fp8_fp8 v[124:127], a[122:123], a[106:107], v[124:127]// 000000008D40: D3F3007C 1DF2D57A
	s_add_u32 s60, 0x80, s80                                   // 000000008D48: 803C50FF 00000080
	s_cmp_lt_u32 s60, s81                                      // 000000008D50: BF0A513C
	s_cselect_b32 s83, s83, 0                                  // 000000008D54: 85538053
	v_mfma_f32_16x16x32_fp8_fp8 v[124:127], a[124:125], a[108:109], v[124:127]// 000000008D58: D3F3007C 1DF2D97C
	v_mfma_f32_16x16x32_fp8_fp8 v[124:127], a[126:127], a[110:111], v[124:127]// 000000008D60: D3F3007C 1DF2DD7E
	s_waitcnt vmcnt(14)                                        // 000000008D68: BF8C0F7E
	v_mfma_f32_16x16x32_fp8_fp8 v[128:131], a[128:129], a[56:57], v[128:131]// 000000008D6C: D3F30080 1E027180
	buffer_load_dwordx4 a[112:115], v70, s[24:27], 0 offen     // 000000008D74: E05C1000 80867046
	v_mfma_f32_16x16x32_fp8_fp8 v[128:131], a[130:131], a[58:59], v[128:131]// 000000008D7C: D3F30080 1E027582
	v_mfma_f32_16x16x32_fp8_fp8 v[128:131], a[132:133], a[60:61], v[128:131]// 000000008D84: D3F30080 1E027984
	ds_read_b128 a[0:3], v2                                    // 000000008D8C: DBFE0000 00000002
	ds_read_b128 a[4:7], v2 offset:64                          // 000000008D94: DBFE0040 04000002
	v_mfma_f32_16x16x32_fp8_fp8 v[128:131], a[134:135], a[62:63], v[128:131]// 000000008D9C: D3F30080 1E027D86
	v_mfma_f32_16x16x32_fp8_fp8 v[156:159], a[136:137], a[56:57], v[156:159]// 000000008DA4: D3F3009C 1E727188
	buffer_load_dwordx4 a[116:119], v70, s[24:27], 0 offen offset:1024// 000000008DAC: E05C1400 80867446
	v_mfma_f32_16x16x32_fp8_fp8 v[156:159], a[138:139], a[58:59], v[156:159]// 000000008DB4: D3F3009C 1E72758A
	v_mfma_f32_16x16x32_fp8_fp8 v[156:159], a[140:141], a[60:61], v[156:159]// 000000008DBC: D3F3009C 1E72798C
	ds_read_b128 a[8:11], v2 offset:512                        // 000000008DC4: DBFE0200 08000002
	ds_read_b128 a[12:15], v2 offset:576                       // 000000008DCC: DBFE0240 0C000002
	v_mfma_f32_16x16x32_fp8_fp8 v[156:159], a[142:143], a[62:63], v[156:159]// 000000008DD4: D3F3009C 1E727D8E
	v_mfma_f32_16x16x32_fp8_fp8 v[132:135], a[128:129], a[64:65], v[132:135]// 000000008DDC: D3F30084 1E128180
	buffer_load_dwordx4 a[120:123], v71, s[24:27], 0 offen     // 000000008DE4: E05C1000 80867847
	v_mfma_f32_16x16x32_fp8_fp8 v[132:135], a[130:131], a[66:67], v[132:135]// 000000008DEC: D3F30084 1E128582
	v_mfma_f32_16x16x32_fp8_fp8 v[132:135], a[132:133], a[68:69], v[132:135]// 000000008DF4: D3F30084 1E128984
	ds_read_b128 a[16:19], v2 offset:1024                      // 000000008DFC: DBFE0400 10000002
	ds_read_b128 a[20:23], v2 offset:1088                      // 000000008E04: DBFE0440 14000002
	v_mfma_f32_16x16x32_fp8_fp8 v[132:135], a[134:135], a[70:71], v[132:135]// 000000008E0C: D3F30084 1E128D86
	v_mfma_f32_16x16x32_fp8_fp8 v[160:163], a[136:137], a[64:65], v[160:163]// 000000008E14: D3F300A0 1E828188
	buffer_load_dwordx4 a[124:127], v71, s[24:27], 0 offen offset:1024// 000000008E1C: E05C1400 80867C47
	v_mfma_f32_16x16x32_fp8_fp8 v[160:163], a[138:139], a[66:67], v[160:163]// 000000008E24: D3F300A0 1E82858A
	v_mfma_f32_16x16x32_fp8_fp8 v[160:163], a[140:141], a[68:69], v[160:163]// 000000008E2C: D3F300A0 1E82898C
	ds_read_b128 a[24:27], v2 offset:1536                      // 000000008E34: DBFE0600 18000002
	ds_read_b128 a[28:31], v2 offset:1600                      // 000000008E3C: DBFE0640 1C000002
	v_mfma_f32_16x16x32_fp8_fp8 v[160:163], a[142:143], a[70:71], v[160:163]// 000000008E44: D3F300A0 1E828D8E
	v_mfma_f32_16x16x32_fp8_fp8 v[136:139], a[128:129], a[72:73], v[136:139]// 000000008E4C: D3F30088 1E229180
	v_mfma_f32_16x16x32_fp8_fp8 v[136:139], a[130:131], a[74:75], v[136:139]// 000000008E54: D3F30088 1E229582
	v_mfma_f32_16x16x32_fp8_fp8 v[136:139], a[132:133], a[76:77], v[136:139]// 000000008E5C: D3F30088 1E229984
	ds_read_b128 a[32:35], v2 offset:2048                      // 000000008E64: DBFE0800 20000002
	ds_read_b128 a[36:39], v2 offset:2112                      // 000000008E6C: DBFE0840 24000002
	v_mfma_f32_16x16x32_fp8_fp8 v[136:139], a[134:135], a[78:79], v[136:139]// 000000008E74: D3F30088 1E229D86
	v_mfma_f32_16x16x32_fp8_fp8 v[164:167], a[136:137], a[72:73], v[164:167]// 000000008E7C: D3F300A4 1E929188
	v_mfma_f32_16x16x32_fp8_fp8 v[164:167], a[138:139], a[74:75], v[164:167]// 000000008E84: D3F300A4 1E92958A
	v_mfma_f32_16x16x32_fp8_fp8 v[164:167], a[140:141], a[76:77], v[164:167]// 000000008E8C: D3F300A4 1E92998C
	ds_read_b128 a[40:43], v2 offset:2560                      // 000000008E94: DBFE0A00 28000002
	ds_read_b128 a[44:47], v2 offset:2624                      // 000000008E9C: DBFE0A40 2C000002
	v_mfma_f32_16x16x32_fp8_fp8 v[164:167], a[142:143], a[78:79], v[164:167]// 000000008EA4: D3F300A4 1E929D8E
	v_mfma_f32_16x16x32_fp8_fp8 v[140:143], a[128:129], a[80:81], v[140:143]// 000000008EAC: D3F3008C 1E32A180
	v_mfma_f32_16x16x32_fp8_fp8 v[140:143], a[130:131], a[82:83], v[140:143]// 000000008EB4: D3F3008C 1E32A582
	v_mfma_f32_16x16x32_fp8_fp8 v[140:143], a[132:133], a[84:85], v[140:143]// 000000008EBC: D3F3008C 1E32A984
	ds_read_b128 a[48:51], v2 offset:3072                      // 000000008EC4: DBFE0C00 30000002
	ds_read_b128 a[52:55], v2 offset:3136                      // 000000008ECC: DBFE0C40 34000002
	v_mfma_f32_16x16x32_fp8_fp8 v[140:143], a[134:135], a[86:87], v[140:143]// 000000008ED4: D3F3008C 1E32AD86
	v_mfma_f32_16x16x32_fp8_fp8 v[168:171], a[136:137], a[80:81], v[168:171]// 000000008EDC: D3F300A8 1EA2A188
	v_mfma_f32_16x16x32_fp8_fp8 v[168:171], a[138:139], a[82:83], v[168:171]// 000000008EE4: D3F300A8 1EA2A58A
	v_mfma_f32_16x16x32_fp8_fp8 v[168:171], a[140:141], a[84:85], v[168:171]// 000000008EEC: D3F300A8 1EA2A98C
	v_mfma_f32_16x16x32_fp8_fp8 v[168:171], a[142:143], a[86:87], v[168:171]// 000000008EF4: D3F300A8 1EA2AD8E
	v_mfma_f32_16x16x32_fp8_fp8 v[144:147], a[128:129], a[88:89], v[144:147]// 000000008EFC: D3F30090 1E42B180
	v_mfma_f32_16x16x32_fp8_fp8 v[144:147], a[130:131], a[90:91], v[144:147]// 000000008F04: D3F30090 1E42B582
	v_mfma_f32_16x16x32_fp8_fp8 v[144:147], a[132:133], a[92:93], v[144:147]// 000000008F0C: D3F30090 1E42B984
	v_mfma_f32_16x16x32_fp8_fp8 v[144:147], a[134:135], a[94:95], v[144:147]// 000000008F14: D3F30090 1E42BD86
	v_mfma_f32_16x16x32_fp8_fp8 v[172:175], a[136:137], a[88:89], v[172:175]// 000000008F1C: D3F300AC 1EB2B188
	v_mfma_f32_16x16x32_fp8_fp8 v[172:175], a[138:139], a[90:91], v[172:175]// 000000008F24: D3F300AC 1EB2B58A
	v_mfma_f32_16x16x32_fp8_fp8 v[172:175], a[140:141], a[92:93], v[172:175]// 000000008F2C: D3F300AC 1EB2B98C
	v_mfma_f32_16x16x32_fp8_fp8 v[172:175], a[142:143], a[94:95], v[172:175]// 000000008F34: D3F300AC 1EB2BD8E
	v_mfma_f32_16x16x32_fp8_fp8 v[148:151], a[128:129], a[96:97], v[148:151]// 000000008F3C: D3F30094 1E52C180
	v_mfma_f32_16x16x32_fp8_fp8 v[148:151], a[130:131], a[98:99], v[148:151]// 000000008F44: D3F30094 1E52C582
	v_mfma_f32_16x16x32_fp8_fp8 v[148:151], a[132:133], a[100:101], v[148:151]// 000000008F4C: D3F30094 1E52C984
	v_mfma_f32_16x16x32_fp8_fp8 v[148:151], a[134:135], a[102:103], v[148:151]// 000000008F54: D3F30094 1E52CD86
	v_mfma_f32_16x16x32_fp8_fp8 v[176:179], a[136:137], a[96:97], v[176:179]// 000000008F5C: D3F300B0 1EC2C188
	v_mfma_f32_16x16x32_fp8_fp8 v[176:179], a[138:139], a[98:99], v[176:179]// 000000008F64: D3F300B0 1EC2C58A
	v_mfma_f32_16x16x32_fp8_fp8 v[176:179], a[140:141], a[100:101], v[176:179]// 000000008F6C: D3F300B0 1EC2C98C
	v_mfma_f32_16x16x32_fp8_fp8 v[176:179], a[142:143], a[102:103], v[176:179]// 000000008F74: D3F300B0 1EC2CD8E
	v_mfma_f32_16x16x32_fp8_fp8 v[152:155], a[128:129], a[104:105], v[152:155]// 000000008F7C: D3F30098 1E62D180
	v_mfma_f32_16x16x32_fp8_fp8 v[152:155], a[130:131], a[106:107], v[152:155]// 000000008F84: D3F30098 1E62D582
	v_mfma_f32_16x16x32_fp8_fp8 v[152:155], a[132:133], a[108:109], v[152:155]// 000000008F8C: D3F30098 1E62D984
	s_add_u32 s60, 0x180, s80                                  // 000000008F94: 803C50FF 00000180
	s_cmp_lt_u32 s60, s81                                      // 000000008F9C: BF0A513C
	s_cselect_b32 s57, s57, 0                                  // 000000008FA0: 85398039
	v_mfma_f32_16x16x32_fp8_fp8 v[152:155], a[134:135], a[110:111], v[152:155]// 000000008FA4: D3F30098 1E62DD86
	s_add_u32 s60, 0x100, s80                                  // 000000008FAC: 803C50FF 00000100
	s_cmp_lt_u32 s60, s81                                      // 000000008FB4: BF0A513C
	s_cselect_b32 s58, s58, 0                                  // 000000008FB8: 853A803A
	v_mfma_f32_16x16x32_fp8_fp8 v[180:183], a[136:137], a[104:105], v[180:183]// 000000008FBC: D3F300B4 1ED2D188
	s_add_u32 s24, s58, s24                                    // 000000008FC4: 8018183A
	s_addc_u32 s25, 0, s25                                     // 000000008FC8: 82191980
	v_mfma_f32_16x16x32_fp8_fp8 v[180:183], a[138:139], a[106:107], v[180:183]// 000000008FCC: D3F300B4 1ED2D58A
	s_add_u32 s20, s57, s20                                    // 000000008FD4: 80141439
	s_addc_u32 s21, 0, s21                                     // 000000008FD8: 82151580
	v_mfma_f32_16x16x32_fp8_fp8 v[180:183], a[140:141], a[108:109], v[180:183]// 000000008FDC: D3F300B4 1ED2D98C
	s_add_u32 s84, s83, s84                                    // 000000008FE4: 80545453
	s_addc_u32 s85, 0, s85                                     // 000000008FE8: 82555580
	v_mfma_f32_16x16x32_fp8_fp8 v[180:183], a[142:143], a[110:111], v[180:183]// 000000008FEC: D3F300B4 1ED2DD8E
	s_addk_i32 s80, 0x80                                       // 000000008FF4: B7500080
	s_cmp_lt_i32 s80, s81                                      // 000000008FF8: BF045150
	s_cbranch_scc0 label_1984                                  // 000000008FFC: BF840001
	s_branch label_16CB                                        // 000000009000: BF82FD47

0000000000009004 <label_1984>:
	v_mul_f32_dpp v72, v24, v72 row_newbcast:0 row_mask:0xf bank_mask:0xf// 000000009004: 0A9090FA FF015018
	v_mul_f32_dpp v73, v24, v73 row_newbcast:1 row_mask:0xf bank_mask:0xf// 00000000900C: 0A9292FA FF015118
	v_mul_f32_dpp v74, v24, v74 row_newbcast:2 row_mask:0xf bank_mask:0xf// 000000009014: 0A9494FA FF015218
	v_mul_f32_dpp v75, v24, v75 row_newbcast:3 row_mask:0xf bank_mask:0xf// 00000000901C: 0A9696FA FF015318
	v_mul_f32_dpp v76, v24, v76 row_newbcast:0 row_mask:0xf bank_mask:0xf// 000000009024: 0A9898FA FF015018
	v_mul_f32_dpp v77, v24, v77 row_newbcast:1 row_mask:0xf bank_mask:0xf// 00000000902C: 0A9A9AFA FF015118
	v_mul_f32_dpp v78, v24, v78 row_newbcast:2 row_mask:0xf bank_mask:0xf// 000000009034: 0A9C9CFA FF015218
	v_mul_f32_dpp v79, v24, v79 row_newbcast:3 row_mask:0xf bank_mask:0xf// 00000000903C: 0A9E9EFA FF015318
	v_mul_f32_dpp v80, v24, v80 row_newbcast:0 row_mask:0xf bank_mask:0xf// 000000009044: 0AA0A0FA FF015018
	v_mul_f32_dpp v81, v24, v81 row_newbcast:1 row_mask:0xf bank_mask:0xf// 00000000904C: 0AA2A2FA FF015118
	v_mul_f32_dpp v82, v24, v82 row_newbcast:2 row_mask:0xf bank_mask:0xf// 000000009054: 0AA4A4FA FF015218
	v_mul_f32_dpp v83, v24, v83 row_newbcast:3 row_mask:0xf bank_mask:0xf// 00000000905C: 0AA6A6FA FF015318
	v_mul_f32_dpp v84, v24, v84 row_newbcast:0 row_mask:0xf bank_mask:0xf// 000000009064: 0AA8A8FA FF015018
	v_mul_f32_dpp v85, v24, v85 row_newbcast:1 row_mask:0xf bank_mask:0xf// 00000000906C: 0AAAAAFA FF015118
	v_mul_f32_dpp v86, v24, v86 row_newbcast:2 row_mask:0xf bank_mask:0xf// 000000009074: 0AACACFA FF015218
	v_mul_f32_dpp v87, v24, v87 row_newbcast:3 row_mask:0xf bank_mask:0xf// 00000000907C: 0AAEAEFA FF015318
	v_mul_f32_dpp v88, v24, v88 row_newbcast:0 row_mask:0xf bank_mask:0xf// 000000009084: 0AB0B0FA FF015018
	v_mul_f32_dpp v89, v24, v89 row_newbcast:1 row_mask:0xf bank_mask:0xf// 00000000908C: 0AB2B2FA FF015118
	v_mul_f32_dpp v90, v24, v90 row_newbcast:2 row_mask:0xf bank_mask:0xf// 000000009094: 0AB4B4FA FF015218
	v_mul_f32_dpp v91, v24, v91 row_newbcast:3 row_mask:0xf bank_mask:0xf// 00000000909C: 0AB6B6FA FF015318
	v_mul_f32_dpp v92, v24, v92 row_newbcast:0 row_mask:0xf bank_mask:0xf// 0000000090A4: 0AB8B8FA FF015018
	v_mul_f32_dpp v93, v24, v93 row_newbcast:1 row_mask:0xf bank_mask:0xf// 0000000090AC: 0ABABAFA FF015118
	v_mul_f32_dpp v94, v24, v94 row_newbcast:2 row_mask:0xf bank_mask:0xf// 0000000090B4: 0ABCBCFA FF015218
	v_mul_f32_dpp v95, v24, v95 row_newbcast:3 row_mask:0xf bank_mask:0xf// 0000000090BC: 0ABEBEFA FF015318
	v_mul_f32_dpp v96, v24, v96 row_newbcast:0 row_mask:0xf bank_mask:0xf// 0000000090C4: 0AC0C0FA FF015018
	v_mul_f32_dpp v97, v24, v97 row_newbcast:1 row_mask:0xf bank_mask:0xf// 0000000090CC: 0AC2C2FA FF015118
	v_mul_f32_dpp v98, v24, v98 row_newbcast:2 row_mask:0xf bank_mask:0xf// 0000000090D4: 0AC4C4FA FF015218
	v_mul_f32_dpp v99, v24, v99 row_newbcast:3 row_mask:0xf bank_mask:0xf// 0000000090DC: 0AC6C6FA FF015318
	v_mul_f32_dpp v100, v24, v100 row_newbcast:4 row_mask:0xf bank_mask:0xf// 0000000090E4: 0AC8C8FA FF015418
	v_mul_f32_dpp v101, v24, v101 row_newbcast:5 row_mask:0xf bank_mask:0xf// 0000000090EC: 0ACACAFA FF015518
	v_mul_f32_dpp v102, v24, v102 row_newbcast:6 row_mask:0xf bank_mask:0xf// 0000000090F4: 0ACCCCFA FF015618
	v_mul_f32_dpp v103, v24, v103 row_newbcast:7 row_mask:0xf bank_mask:0xf// 0000000090FC: 0ACECEFA FF015718
	v_mul_f32_dpp v104, v24, v104 row_newbcast:4 row_mask:0xf bank_mask:0xf// 000000009104: 0AD0D0FA FF015418
	v_mul_f32_dpp v105, v24, v105 row_newbcast:5 row_mask:0xf bank_mask:0xf// 00000000910C: 0AD2D2FA FF015518
	v_mul_f32_dpp v106, v24, v106 row_newbcast:6 row_mask:0xf bank_mask:0xf// 000000009114: 0AD4D4FA FF015618
	v_mul_f32_dpp v107, v24, v107 row_newbcast:7 row_mask:0xf bank_mask:0xf// 00000000911C: 0AD6D6FA FF015718
	v_mul_f32_dpp v108, v24, v108 row_newbcast:4 row_mask:0xf bank_mask:0xf// 000000009124: 0AD8D8FA FF015418
	v_mul_f32_dpp v109, v24, v109 row_newbcast:5 row_mask:0xf bank_mask:0xf// 00000000912C: 0ADADAFA FF015518
	v_mul_f32_dpp v110, v24, v110 row_newbcast:6 row_mask:0xf bank_mask:0xf// 000000009134: 0ADCDCFA FF015618
	v_mul_f32_dpp v111, v24, v111 row_newbcast:7 row_mask:0xf bank_mask:0xf// 00000000913C: 0ADEDEFA FF015718
	v_mul_f32_dpp v112, v24, v112 row_newbcast:4 row_mask:0xf bank_mask:0xf// 000000009144: 0AE0E0FA FF015418
	v_mul_f32_dpp v113, v24, v113 row_newbcast:5 row_mask:0xf bank_mask:0xf// 00000000914C: 0AE2E2FA FF015518
	v_mul_f32_dpp v114, v24, v114 row_newbcast:6 row_mask:0xf bank_mask:0xf// 000000009154: 0AE4E4FA FF015618
	v_mul_f32_dpp v115, v24, v115 row_newbcast:7 row_mask:0xf bank_mask:0xf// 00000000915C: 0AE6E6FA FF015718
	v_mul_f32_dpp v116, v24, v116 row_newbcast:4 row_mask:0xf bank_mask:0xf// 000000009164: 0AE8E8FA FF015418
	v_mul_f32_dpp v117, v24, v117 row_newbcast:5 row_mask:0xf bank_mask:0xf// 00000000916C: 0AEAEAFA FF015518
	v_mul_f32_dpp v118, v24, v118 row_newbcast:6 row_mask:0xf bank_mask:0xf// 000000009174: 0AECECFA FF015618
	v_mul_f32_dpp v119, v24, v119 row_newbcast:7 row_mask:0xf bank_mask:0xf// 00000000917C: 0AEEEEFA FF015718
	v_mul_f32_dpp v120, v24, v120 row_newbcast:4 row_mask:0xf bank_mask:0xf// 000000009184: 0AF0F0FA FF015418
	v_mul_f32_dpp v121, v24, v121 row_newbcast:5 row_mask:0xf bank_mask:0xf// 00000000918C: 0AF2F2FA FF015518
	v_mul_f32_dpp v122, v24, v122 row_newbcast:6 row_mask:0xf bank_mask:0xf// 000000009194: 0AF4F4FA FF015618
	v_mul_f32_dpp v123, v24, v123 row_newbcast:7 row_mask:0xf bank_mask:0xf// 00000000919C: 0AF6F6FA FF015718
	v_mul_f32_dpp v124, v24, v124 row_newbcast:4 row_mask:0xf bank_mask:0xf// 0000000091A4: 0AF8F8FA FF015418
	v_mul_f32_dpp v125, v24, v125 row_newbcast:5 row_mask:0xf bank_mask:0xf// 0000000091AC: 0AFAFAFA FF015518
	v_mul_f32_dpp v126, v24, v126 row_newbcast:6 row_mask:0xf bank_mask:0xf// 0000000091B4: 0AFCFCFA FF015618
	v_mul_f32_dpp v127, v24, v127 row_newbcast:7 row_mask:0xf bank_mask:0xf// 0000000091BC: 0AFEFEFA FF015718
	v_mul_f32_dpp v128, v26, v128 row_newbcast:0 row_mask:0xf bank_mask:0xf// 0000000091C4: 0B0100FA FF01501A
	v_mul_f32_dpp v129, v26, v129 row_newbcast:1 row_mask:0xf bank_mask:0xf// 0000000091CC: 0B0302FA FF01511A
	v_mul_f32_dpp v130, v26, v130 row_newbcast:2 row_mask:0xf bank_mask:0xf// 0000000091D4: 0B0504FA FF01521A
	v_mul_f32_dpp v131, v26, v131 row_newbcast:3 row_mask:0xf bank_mask:0xf// 0000000091DC: 0B0706FA FF01531A
	v_mul_f32_dpp v132, v26, v132 row_newbcast:0 row_mask:0xf bank_mask:0xf// 0000000091E4: 0B0908FA FF01501A
	v_mul_f32_dpp v133, v26, v133 row_newbcast:1 row_mask:0xf bank_mask:0xf// 0000000091EC: 0B0B0AFA FF01511A
	v_mul_f32_dpp v134, v26, v134 row_newbcast:2 row_mask:0xf bank_mask:0xf// 0000000091F4: 0B0D0CFA FF01521A
	v_mul_f32_dpp v135, v26, v135 row_newbcast:3 row_mask:0xf bank_mask:0xf// 0000000091FC: 0B0F0EFA FF01531A
	v_mul_f32_dpp v136, v26, v136 row_newbcast:0 row_mask:0xf bank_mask:0xf// 000000009204: 0B1110FA FF01501A
	v_mul_f32_dpp v137, v26, v137 row_newbcast:1 row_mask:0xf bank_mask:0xf// 00000000920C: 0B1312FA FF01511A
	v_mul_f32_dpp v138, v26, v138 row_newbcast:2 row_mask:0xf bank_mask:0xf// 000000009214: 0B1514FA FF01521A
	v_mul_f32_dpp v139, v26, v139 row_newbcast:3 row_mask:0xf bank_mask:0xf// 00000000921C: 0B1716FA FF01531A
	v_mul_f32_dpp v140, v26, v140 row_newbcast:0 row_mask:0xf bank_mask:0xf// 000000009224: 0B1918FA FF01501A
	v_mul_f32_dpp v141, v26, v141 row_newbcast:1 row_mask:0xf bank_mask:0xf// 00000000922C: 0B1B1AFA FF01511A
	v_mul_f32_dpp v142, v26, v142 row_newbcast:2 row_mask:0xf bank_mask:0xf// 000000009234: 0B1D1CFA FF01521A
	v_mul_f32_dpp v143, v26, v143 row_newbcast:3 row_mask:0xf bank_mask:0xf// 00000000923C: 0B1F1EFA FF01531A
	v_mul_f32_dpp v144, v26, v144 row_newbcast:0 row_mask:0xf bank_mask:0xf// 000000009244: 0B2120FA FF01501A
	v_mul_f32_dpp v145, v26, v145 row_newbcast:1 row_mask:0xf bank_mask:0xf// 00000000924C: 0B2322FA FF01511A
	v_mul_f32_dpp v146, v26, v146 row_newbcast:2 row_mask:0xf bank_mask:0xf// 000000009254: 0B2524FA FF01521A
	v_mul_f32_dpp v147, v26, v147 row_newbcast:3 row_mask:0xf bank_mask:0xf// 00000000925C: 0B2726FA FF01531A
	v_mul_f32_dpp v148, v26, v148 row_newbcast:0 row_mask:0xf bank_mask:0xf// 000000009264: 0B2928FA FF01501A
	v_mul_f32_dpp v149, v26, v149 row_newbcast:1 row_mask:0xf bank_mask:0xf// 00000000926C: 0B2B2AFA FF01511A
	v_mul_f32_dpp v150, v26, v150 row_newbcast:2 row_mask:0xf bank_mask:0xf// 000000009274: 0B2D2CFA FF01521A
	v_mul_f32_dpp v151, v26, v151 row_newbcast:3 row_mask:0xf bank_mask:0xf// 00000000927C: 0B2F2EFA FF01531A
	v_mul_f32_dpp v152, v26, v152 row_newbcast:0 row_mask:0xf bank_mask:0xf// 000000009284: 0B3130FA FF01501A
	v_mul_f32_dpp v153, v26, v153 row_newbcast:1 row_mask:0xf bank_mask:0xf// 00000000928C: 0B3332FA FF01511A
	v_mul_f32_dpp v154, v26, v154 row_newbcast:2 row_mask:0xf bank_mask:0xf// 000000009294: 0B3534FA FF01521A
	v_mul_f32_dpp v155, v26, v155 row_newbcast:3 row_mask:0xf bank_mask:0xf// 00000000929C: 0B3736FA FF01531A
	v_mul_f32_dpp v156, v26, v156 row_newbcast:4 row_mask:0xf bank_mask:0xf// 0000000092A4: 0B3938FA FF01541A
	v_mul_f32_dpp v157, v26, v157 row_newbcast:5 row_mask:0xf bank_mask:0xf// 0000000092AC: 0B3B3AFA FF01551A
	v_mul_f32_dpp v158, v26, v158 row_newbcast:6 row_mask:0xf bank_mask:0xf// 0000000092B4: 0B3D3CFA FF01561A
	v_mul_f32_dpp v159, v26, v159 row_newbcast:7 row_mask:0xf bank_mask:0xf// 0000000092BC: 0B3F3EFA FF01571A
	v_mul_f32_dpp v160, v26, v160 row_newbcast:4 row_mask:0xf bank_mask:0xf// 0000000092C4: 0B4140FA FF01541A
	v_mul_f32_dpp v161, v26, v161 row_newbcast:5 row_mask:0xf bank_mask:0xf// 0000000092CC: 0B4342FA FF01551A
	v_mul_f32_dpp v162, v26, v162 row_newbcast:6 row_mask:0xf bank_mask:0xf// 0000000092D4: 0B4544FA FF01561A
	v_mul_f32_dpp v163, v26, v163 row_newbcast:7 row_mask:0xf bank_mask:0xf// 0000000092DC: 0B4746FA FF01571A
	v_mul_f32_dpp v164, v26, v164 row_newbcast:4 row_mask:0xf bank_mask:0xf// 0000000092E4: 0B4948FA FF01541A
	v_mul_f32_dpp v165, v26, v165 row_newbcast:5 row_mask:0xf bank_mask:0xf// 0000000092EC: 0B4B4AFA FF01551A
	v_mul_f32_dpp v166, v26, v166 row_newbcast:6 row_mask:0xf bank_mask:0xf// 0000000092F4: 0B4D4CFA FF01561A
	v_mul_f32_dpp v167, v26, v167 row_newbcast:7 row_mask:0xf bank_mask:0xf// 0000000092FC: 0B4F4EFA FF01571A
	v_mul_f32_dpp v168, v26, v168 row_newbcast:4 row_mask:0xf bank_mask:0xf// 000000009304: 0B5150FA FF01541A
	v_mul_f32_dpp v169, v26, v169 row_newbcast:5 row_mask:0xf bank_mask:0xf// 00000000930C: 0B5352FA FF01551A
	v_mul_f32_dpp v170, v26, v170 row_newbcast:6 row_mask:0xf bank_mask:0xf// 000000009314: 0B5554FA FF01561A
	v_mul_f32_dpp v171, v26, v171 row_newbcast:7 row_mask:0xf bank_mask:0xf// 00000000931C: 0B5756FA FF01571A
	v_mul_f32_dpp v172, v26, v172 row_newbcast:4 row_mask:0xf bank_mask:0xf// 000000009324: 0B5958FA FF01541A
	v_mul_f32_dpp v173, v26, v173 row_newbcast:5 row_mask:0xf bank_mask:0xf// 00000000932C: 0B5B5AFA FF01551A
	v_mul_f32_dpp v174, v26, v174 row_newbcast:6 row_mask:0xf bank_mask:0xf// 000000009334: 0B5D5CFA FF01561A
	v_mul_f32_dpp v175, v26, v175 row_newbcast:7 row_mask:0xf bank_mask:0xf// 00000000933C: 0B5F5EFA FF01571A
	v_mul_f32_dpp v176, v26, v176 row_newbcast:4 row_mask:0xf bank_mask:0xf// 000000009344: 0B6160FA FF01541A
	v_mul_f32_dpp v177, v26, v177 row_newbcast:5 row_mask:0xf bank_mask:0xf// 00000000934C: 0B6362FA FF01551A
	v_mul_f32_dpp v178, v26, v178 row_newbcast:6 row_mask:0xf bank_mask:0xf// 000000009354: 0B6564FA FF01561A
	v_mul_f32_dpp v179, v26, v179 row_newbcast:7 row_mask:0xf bank_mask:0xf// 00000000935C: 0B6766FA FF01571A
	v_mul_f32_dpp v180, v26, v180 row_newbcast:4 row_mask:0xf bank_mask:0xf// 000000009364: 0B6968FA FF01541A
	v_mul_f32_dpp v181, v26, v181 row_newbcast:5 row_mask:0xf bank_mask:0xf// 00000000936C: 0B6B6AFA FF01551A
	v_mul_f32_dpp v182, v26, v182 row_newbcast:6 row_mask:0xf bank_mask:0xf// 000000009374: 0B6D6CFA FF01561A
	v_mul_f32_dpp v183, v26, v183 row_newbcast:7 row_mask:0xf bank_mask:0xf// 00000000937C: 0B6F6EFA FF01571A
	v_mul_f32_e32 v35, v35, v184                               // 000000009384: 0A477123
	v_mov_b32_e32 v4, v35                                      // 000000009388: 7E080323
	v_mov_b32_e32 v5, v4                                       // 00000000938C: 7E0A0304
	v_pk_mul_f32 v[72:73], v[4:5], v[72:73]                    // 000000009390: D3B14048 18029104
	v_pk_mul_f32 v[128:129], v[4:5], v[128:129]                // 000000009398: D3B14080 18030104
	v_pk_mul_f32 v[74:75], v[4:5], v[74:75]                    // 0000000093A0: D3B1404A 18029504
	v_pk_mul_f32 v[130:131], v[4:5], v[130:131]                // 0000000093A8: D3B14082 18030504
	v_pk_mul_f32 v[100:101], v[4:5], v[100:101]                // 0000000093B0: D3B14064 1802C904
	v_pk_mul_f32 v[156:157], v[4:5], v[156:157]                // 0000000093B8: D3B1409C 18033904
	v_pk_mul_f32 v[102:103], v[4:5], v[102:103]                // 0000000093C0: D3B14066 1802CD04
	v_pk_mul_f32 v[158:159], v[4:5], v[158:159]                // 0000000093C8: D3B1409E 18033D04
	v_mul_f32_e32 v36, v36, v185                               // 0000000093D0: 0A497324
	v_mov_b32_e32 v4, v36                                      // 0000000093D4: 7E080324
	v_mov_b32_e32 v5, v4                                       // 0000000093D8: 7E0A0304
	v_pk_mul_f32 v[76:77], v[4:5], v[76:77]                    // 0000000093DC: D3B1404C 18029904
	v_pk_mul_f32 v[132:133], v[4:5], v[132:133]                // 0000000093E4: D3B14084 18030904
	v_pk_mul_f32 v[78:79], v[4:5], v[78:79]                    // 0000000093EC: D3B1404E 18029D04
	v_pk_mul_f32 v[134:135], v[4:5], v[134:135]                // 0000000093F4: D3B14086 18030D04
	v_pk_mul_f32 v[104:105], v[4:5], v[104:105]                // 0000000093FC: D3B14068 1802D104
	v_pk_mul_f32 v[160:161], v[4:5], v[160:161]                // 000000009404: D3B140A0 18034104
	v_pk_mul_f32 v[106:107], v[4:5], v[106:107]                // 00000000940C: D3B1406A 1802D504
	v_pk_mul_f32 v[162:163], v[4:5], v[162:163]                // 000000009414: D3B140A2 18034504
	v_mul_f32_e32 v37, v37, v186                               // 00000000941C: 0A4B7525
	v_mov_b32_e32 v4, v37                                      // 000000009420: 7E080325
	v_mov_b32_e32 v5, v4                                       // 000000009424: 7E0A0304
	v_pk_mul_f32 v[80:81], v[4:5], v[80:81]                    // 000000009428: D3B14050 1802A104
	v_pk_mul_f32 v[136:137], v[4:5], v[136:137]                // 000000009430: D3B14088 18031104
	v_pk_mul_f32 v[82:83], v[4:5], v[82:83]                    // 000000009438: D3B14052 1802A504
	v_pk_mul_f32 v[138:139], v[4:5], v[138:139]                // 000000009440: D3B1408A 18031504
	v_pk_mul_f32 v[108:109], v[4:5], v[108:109]                // 000000009448: D3B1406C 1802D904
	v_pk_mul_f32 v[164:165], v[4:5], v[164:165]                // 000000009450: D3B140A4 18034904
	v_pk_mul_f32 v[110:111], v[4:5], v[110:111]                // 000000009458: D3B1406E 1802DD04
	v_pk_mul_f32 v[166:167], v[4:5], v[166:167]                // 000000009460: D3B140A6 18034D04
	v_mul_f32_e32 v38, v38, v187                               // 000000009468: 0A4D7726
	v_mov_b32_e32 v4, v38                                      // 00000000946C: 7E080326
	v_mov_b32_e32 v5, v4                                       // 000000009470: 7E0A0304
	v_pk_mul_f32 v[84:85], v[4:5], v[84:85]                    // 000000009474: D3B14054 1802A904
	v_pk_mul_f32 v[140:141], v[4:5], v[140:141]                // 00000000947C: D3B1408C 18031904
	v_pk_mul_f32 v[86:87], v[4:5], v[86:87]                    // 000000009484: D3B14056 1802AD04
	v_pk_mul_f32 v[142:143], v[4:5], v[142:143]                // 00000000948C: D3B1408E 18031D04
	v_pk_mul_f32 v[112:113], v[4:5], v[112:113]                // 000000009494: D3B14070 1802E104
	v_pk_mul_f32 v[168:169], v[4:5], v[168:169]                // 00000000949C: D3B140A8 18035104
	v_pk_mul_f32 v[114:115], v[4:5], v[114:115]                // 0000000094A4: D3B14072 1802E504
	v_pk_mul_f32 v[170:171], v[4:5], v[170:171]                // 0000000094AC: D3B140AA 18035504
	v_mul_f32_e32 v39, v39, v188                               // 0000000094B4: 0A4F7927
	v_mov_b32_e32 v4, v39                                      // 0000000094B8: 7E080327
	v_mov_b32_e32 v5, v4                                       // 0000000094BC: 7E0A0304
	v_pk_mul_f32 v[88:89], v[4:5], v[88:89]                    // 0000000094C0: D3B14058 1802B104
	v_pk_mul_f32 v[144:145], v[4:5], v[144:145]                // 0000000094C8: D3B14090 18032104
	v_pk_mul_f32 v[90:91], v[4:5], v[90:91]                    // 0000000094D0: D3B1405A 1802B504
	v_pk_mul_f32 v[146:147], v[4:5], v[146:147]                // 0000000094D8: D3B14092 18032504
	v_pk_mul_f32 v[116:117], v[4:5], v[116:117]                // 0000000094E0: D3B14074 1802E904
	v_pk_mul_f32 v[172:173], v[4:5], v[172:173]                // 0000000094E8: D3B140AC 18035904
	v_pk_mul_f32 v[118:119], v[4:5], v[118:119]                // 0000000094F0: D3B14076 1802ED04
	v_pk_mul_f32 v[174:175], v[4:5], v[174:175]                // 0000000094F8: D3B140AE 18035D04
	v_mul_f32_e32 v40, v40, v189                               // 000000009500: 0A517B28
	v_mov_b32_e32 v4, v40                                      // 000000009504: 7E080328
	v_mov_b32_e32 v5, v4                                       // 000000009508: 7E0A0304
	v_pk_mul_f32 v[92:93], v[4:5], v[92:93]                    // 00000000950C: D3B1405C 1802B904
	v_pk_mul_f32 v[148:149], v[4:5], v[148:149]                // 000000009514: D3B14094 18032904
	v_pk_mul_f32 v[94:95], v[4:5], v[94:95]                    // 00000000951C: D3B1405E 1802BD04
	v_pk_mul_f32 v[150:151], v[4:5], v[150:151]                // 000000009524: D3B14096 18032D04
	v_pk_mul_f32 v[120:121], v[4:5], v[120:121]                // 00000000952C: D3B14078 1802F104
	v_pk_mul_f32 v[176:177], v[4:5], v[176:177]                // 000000009534: D3B140B0 18036104
	v_pk_mul_f32 v[122:123], v[4:5], v[122:123]                // 00000000953C: D3B1407A 1802F504
	v_pk_mul_f32 v[178:179], v[4:5], v[178:179]                // 000000009544: D3B140B2 18036504
	v_mul_f32_e32 v41, v41, v190                               // 00000000954C: 0A537D29
	v_mov_b32_e32 v4, v41                                      // 000000009550: 7E080329
	v_mov_b32_e32 v5, v4                                       // 000000009554: 7E0A0304
	v_pk_mul_f32 v[96:97], v[4:5], v[96:97]                    // 000000009558: D3B14060 1802C104
	v_pk_mul_f32 v[152:153], v[4:5], v[152:153]                // 000000009560: D3B14098 18033104
	v_pk_mul_f32 v[98:99], v[4:5], v[98:99]                    // 000000009568: D3B14062 1802C504
	v_pk_mul_f32 v[154:155], v[4:5], v[154:155]                // 000000009570: D3B1409A 18033504
	v_pk_mul_f32 v[124:125], v[4:5], v[124:125]                // 000000009578: D3B1407C 1802F904
	v_pk_mul_f32 v[180:181], v[4:5], v[180:181]                // 000000009580: D3B140B4 18036904
	v_pk_mul_f32 v[126:127], v[4:5], v[126:127]                // 000000009588: D3B1407E 1802FD04
	v_pk_mul_f32 v[182:183], v[4:5], v[182:183]                // 000000009590: D3B140B6 18036D04
	s_cmp_eq_u32 s88, 0                                        // 000000009598: BF068058
	s_cbranch_scc0 label_2324                                  // 00000000959C: BF840839
	s_cmp_eq_u32 s89, 0                                        // 0000000095A0: BF068059
	s_cbranch_scc1 label_1D22                                  // 0000000095A4: BF850235
	v_mov_b32_e32 v8, v1                                       // 0000000095A8: 7E100301
	v_mov_b32_e32 v9, v1                                       // 0000000095AC: 7E120301
	s_mov_b32 s60, s6                                          // 0000000095B0: BEBC0006
	s_mov_b32 s61, s6                                          // 0000000095B4: BEBD0006
	v_pk_mul_f32 v[4:5], v[72:73], v[72:73]                    // 0000000095B8: D3B14004 18029148
	v_pk_mul_f32 v[6:7], v[74:75], v[74:75]                    // 0000000095C0: D3B14006 1802954A
	v_pk_fma_f32 v[4:5], v[4:5], s[78:79], v[8:9]              // 0000000095C8: D3B04004 1C209D04
	v_pk_fma_f32 v[6:7], v[6:7], s[78:79], v[8:9]              // 0000000095D0: D3B04006 1C209D06
	v_pk_mul_f32 v[4:5], v[4:5], v[72:73]                      // 0000000095D8: D3B14004 18029104
	v_pk_mul_f32 v[6:7], v[6:7], v[74:75]                      // 0000000095E0: D3B14006 18029506
	v_pk_mul_f32 v[4:5], v[4:5], s[60:61]                      // 0000000095E8: D3B14004 18007904
	v_pk_mul_f32 v[6:7], v[6:7], s[60:61]                      // 0000000095F0: D3B14006 18007906
	v_exp_f32_e32 v4, v4                                       // 0000000095F8: 7E084104
	v_exp_f32_e32 v5, v5                                       // 0000000095FC: 7E0A4105
	v_exp_f32_e32 v6, v6                                       // 000000009600: 7E0C4106
	v_exp_f32_e32 v7, v7                                       // 000000009604: 7E0E4107
	v_add_f32_e64 v4, v4, 1.0                                  // 000000009608: D1010004 0001E504
	v_add_f32_e64 v5, v5, 1.0                                  // 000000009610: D1010005 0001E505
	v_add_f32_e64 v6, v6, 1.0                                  // 000000009618: D1010006 0001E506
	v_add_f32_e64 v7, v7, 1.0                                  // 000000009620: D1010007 0001E507
	v_rcp_f32_e32 v4, v4                                       // 000000009628: 7E084504
	v_rcp_f32_e32 v5, v5                                       // 00000000962C: 7E0A4505
	v_rcp_f32_e32 v6, v6                                       // 000000009630: 7E0C4506
	v_rcp_f32_e32 v7, v7                                       // 000000009634: 7E0E4507
	v_mul_f32_e32 v72, v72, v4                                 // 000000009638: 0A900948
	v_mul_f32_e32 v73, v73, v5                                 // 00000000963C: 0A920B49
	v_mul_f32_e32 v74, v74, v6                                 // 000000009640: 0A940D4A
	v_mul_f32_e32 v75, v75, v7                                 // 000000009644: 0A960F4B
	v_mul_f32_e32 v72, v72, v128                               // 000000009648: 0A910148
	v_mul_f32_e32 v73, v73, v129                               // 00000000964C: 0A930349
	v_mul_f32_e32 v74, v74, v130                               // 000000009650: 0A95054A
	v_mul_f32_e32 v75, v75, v131                               // 000000009654: 0A97074B
	v_pk_mul_f32 v[4:5], v[76:77], v[76:77]                    // 000000009658: D3B14004 1802994C
	v_pk_mul_f32 v[6:7], v[78:79], v[78:79]                    // 000000009660: D3B14006 18029D4E
	v_pk_fma_f32 v[4:5], v[4:5], s[78:79], v[8:9]              // 000000009668: D3B04004 1C209D04
	v_pk_fma_f32 v[6:7], v[6:7], s[78:79], v[8:9]              // 000000009670: D3B04006 1C209D06
	v_pk_mul_f32 v[4:5], v[4:5], v[76:77]                      // 000000009678: D3B14004 18029904
	v_pk_mul_f32 v[6:7], v[6:7], v[78:79]                      // 000000009680: D3B14006 18029D06
	v_pk_mul_f32 v[4:5], v[4:5], s[60:61]                      // 000000009688: D3B14004 18007904
	v_pk_mul_f32 v[6:7], v[6:7], s[60:61]                      // 000000009690: D3B14006 18007906
	v_exp_f32_e32 v4, v4                                       // 000000009698: 7E084104
	v_exp_f32_e32 v5, v5                                       // 00000000969C: 7E0A4105
	v_exp_f32_e32 v6, v6                                       // 0000000096A0: 7E0C4106
	v_exp_f32_e32 v7, v7                                       // 0000000096A4: 7E0E4107
	v_add_f32_e64 v4, v4, 1.0                                  // 0000000096A8: D1010004 0001E504
	v_add_f32_e64 v5, v5, 1.0                                  // 0000000096B0: D1010005 0001E505
	v_add_f32_e64 v6, v6, 1.0                                  // 0000000096B8: D1010006 0001E506
	v_add_f32_e64 v7, v7, 1.0                                  // 0000000096C0: D1010007 0001E507
	v_rcp_f32_e32 v4, v4                                       // 0000000096C8: 7E084504
	v_rcp_f32_e32 v5, v5                                       // 0000000096CC: 7E0A4505
	v_rcp_f32_e32 v6, v6                                       // 0000000096D0: 7E0C4506
	v_rcp_f32_e32 v7, v7                                       // 0000000096D4: 7E0E4507
	v_mul_f32_e32 v76, v76, v4                                 // 0000000096D8: 0A98094C
	v_mul_f32_e32 v77, v77, v5                                 // 0000000096DC: 0A9A0B4D
	v_mul_f32_e32 v78, v78, v6                                 // 0000000096E0: 0A9C0D4E
	v_mul_f32_e32 v79, v79, v7                                 // 0000000096E4: 0A9E0F4F
	v_mul_f32_e32 v76, v76, v132                               // 0000000096E8: 0A99094C
	v_mul_f32_e32 v77, v77, v133                               // 0000000096EC: 0A9B0B4D
	v_mul_f32_e32 v78, v78, v134                               // 0000000096F0: 0A9D0D4E
	v_mul_f32_e32 v79, v79, v135                               // 0000000096F4: 0A9F0F4F
	v_pk_mul_f32 v[4:5], v[80:81], v[80:81]                    // 0000000096F8: D3B14004 1802A150
	v_pk_mul_f32 v[6:7], v[82:83], v[82:83]                    // 000000009700: D3B14006 1802A552
	v_pk_fma_f32 v[4:5], v[4:5], s[78:79], v[8:9]              // 000000009708: D3B04004 1C209D04
	v_pk_fma_f32 v[6:7], v[6:7], s[78:79], v[8:9]              // 000000009710: D3B04006 1C209D06
	v_pk_mul_f32 v[4:5], v[4:5], v[80:81]                      // 000000009718: D3B14004 1802A104
	v_pk_mul_f32 v[6:7], v[6:7], v[82:83]                      // 000000009720: D3B14006 1802A506
	v_pk_mul_f32 v[4:5], v[4:5], s[60:61]                      // 000000009728: D3B14004 18007904
	v_pk_mul_f32 v[6:7], v[6:7], s[60:61]                      // 000000009730: D3B14006 18007906
	v_exp_f32_e32 v4, v4                                       // 000000009738: 7E084104
	v_exp_f32_e32 v5, v5                                       // 00000000973C: 7E0A4105
	v_exp_f32_e32 v6, v6                                       // 000000009740: 7E0C4106
	v_exp_f32_e32 v7, v7                                       // 000000009744: 7E0E4107
	v_add_f32_e64 v4, v4, 1.0                                  // 000000009748: D1010004 0001E504
	v_add_f32_e64 v5, v5, 1.0                                  // 000000009750: D1010005 0001E505
	v_add_f32_e64 v6, v6, 1.0                                  // 000000009758: D1010006 0001E506
	v_add_f32_e64 v7, v7, 1.0                                  // 000000009760: D1010007 0001E507
	v_rcp_f32_e32 v4, v4                                       // 000000009768: 7E084504
	v_rcp_f32_e32 v5, v5                                       // 00000000976C: 7E0A4505
	v_rcp_f32_e32 v6, v6                                       // 000000009770: 7E0C4506
	v_rcp_f32_e32 v7, v7                                       // 000000009774: 7E0E4507
	v_mul_f32_e32 v80, v80, v4                                 // 000000009778: 0AA00950
	v_mul_f32_e32 v81, v81, v5                                 // 00000000977C: 0AA20B51
	v_mul_f32_e32 v82, v82, v6                                 // 000000009780: 0AA40D52
	v_mul_f32_e32 v83, v83, v7                                 // 000000009784: 0AA60F53
	v_mul_f32_e32 v80, v80, v136                               // 000000009788: 0AA11150
	v_mul_f32_e32 v81, v81, v137                               // 00000000978C: 0AA31351
	v_mul_f32_e32 v82, v82, v138                               // 000000009790: 0AA51552
	v_mul_f32_e32 v83, v83, v139                               // 000000009794: 0AA71753
	v_pk_mul_f32 v[4:5], v[84:85], v[84:85]                    // 000000009798: D3B14004 1802A954
	v_pk_mul_f32 v[6:7], v[86:87], v[86:87]                    // 0000000097A0: D3B14006 1802AD56
	v_pk_fma_f32 v[4:5], v[4:5], s[78:79], v[8:9]              // 0000000097A8: D3B04004 1C209D04
	v_pk_fma_f32 v[6:7], v[6:7], s[78:79], v[8:9]              // 0000000097B0: D3B04006 1C209D06
	v_pk_mul_f32 v[4:5], v[4:5], v[84:85]                      // 0000000097B8: D3B14004 1802A904
	v_pk_mul_f32 v[6:7], v[6:7], v[86:87]                      // 0000000097C0: D3B14006 1802AD06
	v_pk_mul_f32 v[4:5], v[4:5], s[60:61]                      // 0000000097C8: D3B14004 18007904
	v_pk_mul_f32 v[6:7], v[6:7], s[60:61]                      // 0000000097D0: D3B14006 18007906
	v_exp_f32_e32 v4, v4                                       // 0000000097D8: 7E084104
	v_exp_f32_e32 v5, v5                                       // 0000000097DC: 7E0A4105
	v_exp_f32_e32 v6, v6                                       // 0000000097E0: 7E0C4106
	v_exp_f32_e32 v7, v7                                       // 0000000097E4: 7E0E4107
	v_add_f32_e64 v4, v4, 1.0                                  // 0000000097E8: D1010004 0001E504
	v_add_f32_e64 v5, v5, 1.0                                  // 0000000097F0: D1010005 0001E505
	v_add_f32_e64 v6, v6, 1.0                                  // 0000000097F8: D1010006 0001E506
	v_add_f32_e64 v7, v7, 1.0                                  // 000000009800: D1010007 0001E507
	v_rcp_f32_e32 v4, v4                                       // 000000009808: 7E084504
	v_rcp_f32_e32 v5, v5                                       // 00000000980C: 7E0A4505
	v_rcp_f32_e32 v6, v6                                       // 000000009810: 7E0C4506
	v_rcp_f32_e32 v7, v7                                       // 000000009814: 7E0E4507
	v_mul_f32_e32 v84, v84, v4                                 // 000000009818: 0AA80954
	v_mul_f32_e32 v85, v85, v5                                 // 00000000981C: 0AAA0B55
	v_mul_f32_e32 v86, v86, v6                                 // 000000009820: 0AAC0D56
	v_mul_f32_e32 v87, v87, v7                                 // 000000009824: 0AAE0F57
	v_mul_f32_e32 v84, v84, v140                               // 000000009828: 0AA91954
	v_mul_f32_e32 v85, v85, v141                               // 00000000982C: 0AAB1B55
	v_mul_f32_e32 v86, v86, v142                               // 000000009830: 0AAD1D56
	v_mul_f32_e32 v87, v87, v143                               // 000000009834: 0AAF1F57
	v_pk_mul_f32 v[4:5], v[88:89], v[88:89]                    // 000000009838: D3B14004 1802B158
	v_pk_mul_f32 v[6:7], v[90:91], v[90:91]                    // 000000009840: D3B14006 1802B55A
	v_pk_fma_f32 v[4:5], v[4:5], s[78:79], v[8:9]              // 000000009848: D3B04004 1C209D04
	v_pk_fma_f32 v[6:7], v[6:7], s[78:79], v[8:9]              // 000000009850: D3B04006 1C209D06
	v_pk_mul_f32 v[4:5], v[4:5], v[88:89]                      // 000000009858: D3B14004 1802B104
	v_pk_mul_f32 v[6:7], v[6:7], v[90:91]                      // 000000009860: D3B14006 1802B506
	v_pk_mul_f32 v[4:5], v[4:5], s[60:61]                      // 000000009868: D3B14004 18007904
	v_pk_mul_f32 v[6:7], v[6:7], s[60:61]                      // 000000009870: D3B14006 18007906
	v_exp_f32_e32 v4, v4                                       // 000000009878: 7E084104
	v_exp_f32_e32 v5, v5                                       // 00000000987C: 7E0A4105
	v_exp_f32_e32 v6, v6                                       // 000000009880: 7E0C4106
	v_exp_f32_e32 v7, v7                                       // 000000009884: 7E0E4107
	v_add_f32_e64 v4, v4, 1.0                                  // 000000009888: D1010004 0001E504
	v_add_f32_e64 v5, v5, 1.0                                  // 000000009890: D1010005 0001E505
	v_add_f32_e64 v6, v6, 1.0                                  // 000000009898: D1010006 0001E506
	v_add_f32_e64 v7, v7, 1.0                                  // 0000000098A0: D1010007 0001E507
	v_rcp_f32_e32 v4, v4                                       // 0000000098A8: 7E084504
	v_rcp_f32_e32 v5, v5                                       // 0000000098AC: 7E0A4505
	v_rcp_f32_e32 v6, v6                                       // 0000000098B0: 7E0C4506
	v_rcp_f32_e32 v7, v7                                       // 0000000098B4: 7E0E4507
	v_mul_f32_e32 v88, v88, v4                                 // 0000000098B8: 0AB00958
	v_mul_f32_e32 v89, v89, v5                                 // 0000000098BC: 0AB20B59
	v_mul_f32_e32 v90, v90, v6                                 // 0000000098C0: 0AB40D5A
	v_mul_f32_e32 v91, v91, v7                                 // 0000000098C4: 0AB60F5B
	v_mul_f32_e32 v88, v88, v144                               // 0000000098C8: 0AB12158
	v_mul_f32_e32 v89, v89, v145                               // 0000000098CC: 0AB32359
	v_mul_f32_e32 v90, v90, v146                               // 0000000098D0: 0AB5255A
	v_mul_f32_e32 v91, v91, v147                               // 0000000098D4: 0AB7275B
	v_pk_mul_f32 v[4:5], v[92:93], v[92:93]                    // 0000000098D8: D3B14004 1802B95C
	v_pk_mul_f32 v[6:7], v[94:95], v[94:95]                    // 0000000098E0: D3B14006 1802BD5E
	v_pk_fma_f32 v[4:5], v[4:5], s[78:79], v[8:9]              // 0000000098E8: D3B04004 1C209D04
	v_pk_fma_f32 v[6:7], v[6:7], s[78:79], v[8:9]              // 0000000098F0: D3B04006 1C209D06
	v_pk_mul_f32 v[4:5], v[4:5], v[92:93]                      // 0000000098F8: D3B14004 1802B904
	v_pk_mul_f32 v[6:7], v[6:7], v[94:95]                      // 000000009900: D3B14006 1802BD06
	v_pk_mul_f32 v[4:5], v[4:5], s[60:61]                      // 000000009908: D3B14004 18007904
	v_pk_mul_f32 v[6:7], v[6:7], s[60:61]                      // 000000009910: D3B14006 18007906
	v_exp_f32_e32 v4, v4                                       // 000000009918: 7E084104
	v_exp_f32_e32 v5, v5                                       // 00000000991C: 7E0A4105
	v_exp_f32_e32 v6, v6                                       // 000000009920: 7E0C4106
	v_exp_f32_e32 v7, v7                                       // 000000009924: 7E0E4107
	v_add_f32_e64 v4, v4, 1.0                                  // 000000009928: D1010004 0001E504
	v_add_f32_e64 v5, v5, 1.0                                  // 000000009930: D1010005 0001E505
	v_add_f32_e64 v6, v6, 1.0                                  // 000000009938: D1010006 0001E506
	v_add_f32_e64 v7, v7, 1.0                                  // 000000009940: D1010007 0001E507
	v_rcp_f32_e32 v4, v4                                       // 000000009948: 7E084504
	v_rcp_f32_e32 v5, v5                                       // 00000000994C: 7E0A4505
	v_rcp_f32_e32 v6, v6                                       // 000000009950: 7E0C4506
	v_rcp_f32_e32 v7, v7                                       // 000000009954: 7E0E4507
	v_mul_f32_e32 v92, v92, v4                                 // 000000009958: 0AB8095C
	v_mul_f32_e32 v93, v93, v5                                 // 00000000995C: 0ABA0B5D
	v_mul_f32_e32 v94, v94, v6                                 // 000000009960: 0ABC0D5E
	v_mul_f32_e32 v95, v95, v7                                 // 000000009964: 0ABE0F5F
	v_mul_f32_e32 v92, v92, v148                               // 000000009968: 0AB9295C
	v_mul_f32_e32 v93, v93, v149                               // 00000000996C: 0ABB2B5D
	v_mul_f32_e32 v94, v94, v150                               // 000000009970: 0ABD2D5E
	v_mul_f32_e32 v95, v95, v151                               // 000000009974: 0ABF2F5F
	v_pk_mul_f32 v[4:5], v[96:97], v[96:97]                    // 000000009978: D3B14004 1802C160
	v_pk_mul_f32 v[6:7], v[98:99], v[98:99]                    // 000000009980: D3B14006 1802C562
	v_pk_fma_f32 v[4:5], v[4:5], s[78:79], v[8:9]              // 000000009988: D3B04004 1C209D04
	v_pk_fma_f32 v[6:7], v[6:7], s[78:79], v[8:9]              // 000000009990: D3B04006 1C209D06
	v_pk_mul_f32 v[4:5], v[4:5], v[96:97]                      // 000000009998: D3B14004 1802C104
	v_pk_mul_f32 v[6:7], v[6:7], v[98:99]                      // 0000000099A0: D3B14006 1802C506
	v_pk_mul_f32 v[4:5], v[4:5], s[60:61]                      // 0000000099A8: D3B14004 18007904
	v_pk_mul_f32 v[6:7], v[6:7], s[60:61]                      // 0000000099B0: D3B14006 18007906
	v_exp_f32_e32 v4, v4                                       // 0000000099B8: 7E084104
	v_exp_f32_e32 v5, v5                                       // 0000000099BC: 7E0A4105
	v_exp_f32_e32 v6, v6                                       // 0000000099C0: 7E0C4106
	v_exp_f32_e32 v7, v7                                       // 0000000099C4: 7E0E4107
	v_add_f32_e64 v4, v4, 1.0                                  // 0000000099C8: D1010004 0001E504
	v_add_f32_e64 v5, v5, 1.0                                  // 0000000099D0: D1010005 0001E505
	v_add_f32_e64 v6, v6, 1.0                                  // 0000000099D8: D1010006 0001E506
	v_add_f32_e64 v7, v7, 1.0                                  // 0000000099E0: D1010007 0001E507
	v_rcp_f32_e32 v4, v4                                       // 0000000099E8: 7E084504
	v_rcp_f32_e32 v5, v5                                       // 0000000099EC: 7E0A4505
	v_rcp_f32_e32 v6, v6                                       // 0000000099F0: 7E0C4506
	v_rcp_f32_e32 v7, v7                                       // 0000000099F4: 7E0E4507
	v_mul_f32_e32 v96, v96, v4                                 // 0000000099F8: 0AC00960
	v_mul_f32_e32 v97, v97, v5                                 // 0000000099FC: 0AC20B61
	v_mul_f32_e32 v98, v98, v6                                 // 000000009A00: 0AC40D62
	v_mul_f32_e32 v99, v99, v7                                 // 000000009A04: 0AC60F63
	v_mul_f32_e32 v96, v96, v152                               // 000000009A08: 0AC13160
	v_mul_f32_e32 v97, v97, v153                               // 000000009A0C: 0AC33361
	v_mul_f32_e32 v98, v98, v154                               // 000000009A10: 0AC53562
	v_mul_f32_e32 v99, v99, v155                               // 000000009A14: 0AC73763
	v_pk_mul_f32 v[4:5], v[100:101], v[100:101]                // 000000009A18: D3B14004 1802C964
	v_pk_mul_f32 v[6:7], v[102:103], v[102:103]                // 000000009A20: D3B14006 1802CD66
	v_pk_fma_f32 v[4:5], v[4:5], s[78:79], v[8:9]              // 000000009A28: D3B04004 1C209D04
	v_pk_fma_f32 v[6:7], v[6:7], s[78:79], v[8:9]              // 000000009A30: D3B04006 1C209D06
	v_pk_mul_f32 v[4:5], v[4:5], v[100:101]                    // 000000009A38: D3B14004 1802C904
	v_pk_mul_f32 v[6:7], v[6:7], v[102:103]                    // 000000009A40: D3B14006 1802CD06
	v_pk_mul_f32 v[4:5], v[4:5], s[60:61]                      // 000000009A48: D3B14004 18007904
	v_pk_mul_f32 v[6:7], v[6:7], s[60:61]                      // 000000009A50: D3B14006 18007906
	v_exp_f32_e32 v4, v4                                       // 000000009A58: 7E084104
	v_exp_f32_e32 v5, v5                                       // 000000009A5C: 7E0A4105
	v_exp_f32_e32 v6, v6                                       // 000000009A60: 7E0C4106
	v_exp_f32_e32 v7, v7                                       // 000000009A64: 7E0E4107
	v_add_f32_e64 v4, v4, 1.0                                  // 000000009A68: D1010004 0001E504
	v_add_f32_e64 v5, v5, 1.0                                  // 000000009A70: D1010005 0001E505
	v_add_f32_e64 v6, v6, 1.0                                  // 000000009A78: D1010006 0001E506
	v_add_f32_e64 v7, v7, 1.0                                  // 000000009A80: D1010007 0001E507
	v_rcp_f32_e32 v4, v4                                       // 000000009A88: 7E084504
	v_rcp_f32_e32 v5, v5                                       // 000000009A8C: 7E0A4505
	v_rcp_f32_e32 v6, v6                                       // 000000009A90: 7E0C4506
	v_rcp_f32_e32 v7, v7                                       // 000000009A94: 7E0E4507
	v_mul_f32_e32 v100, v100, v4                               // 000000009A98: 0AC80964
	v_mul_f32_e32 v101, v101, v5                               // 000000009A9C: 0ACA0B65
	v_mul_f32_e32 v102, v102, v6                               // 000000009AA0: 0ACC0D66
	v_mul_f32_e32 v103, v103, v7                               // 000000009AA4: 0ACE0F67
	v_mul_f32_e32 v100, v100, v156                             // 000000009AA8: 0AC93964
	v_mul_f32_e32 v101, v101, v157                             // 000000009AAC: 0ACB3B65
	v_mul_f32_e32 v102, v102, v158                             // 000000009AB0: 0ACD3D66
	v_mul_f32_e32 v103, v103, v159                             // 000000009AB4: 0ACF3F67
	v_pk_mul_f32 v[4:5], v[104:105], v[104:105]                // 000000009AB8: D3B14004 1802D168
	v_pk_mul_f32 v[6:7], v[106:107], v[106:107]                // 000000009AC0: D3B14006 1802D56A
	v_pk_fma_f32 v[4:5], v[4:5], s[78:79], v[8:9]              // 000000009AC8: D3B04004 1C209D04
	v_pk_fma_f32 v[6:7], v[6:7], s[78:79], v[8:9]              // 000000009AD0: D3B04006 1C209D06
	v_pk_mul_f32 v[4:5], v[4:5], v[104:105]                    // 000000009AD8: D3B14004 1802D104
	v_pk_mul_f32 v[6:7], v[6:7], v[106:107]                    // 000000009AE0: D3B14006 1802D506
	v_pk_mul_f32 v[4:5], v[4:5], s[60:61]                      // 000000009AE8: D3B14004 18007904
	v_pk_mul_f32 v[6:7], v[6:7], s[60:61]                      // 000000009AF0: D3B14006 18007906
	v_exp_f32_e32 v4, v4                                       // 000000009AF8: 7E084104
	v_exp_f32_e32 v5, v5                                       // 000000009AFC: 7E0A4105
	v_exp_f32_e32 v6, v6                                       // 000000009B00: 7E0C4106
	v_exp_f32_e32 v7, v7                                       // 000000009B04: 7E0E4107
	v_add_f32_e64 v4, v4, 1.0                                  // 000000009B08: D1010004 0001E504
	v_add_f32_e64 v5, v5, 1.0                                  // 000000009B10: D1010005 0001E505
	v_add_f32_e64 v6, v6, 1.0                                  // 000000009B18: D1010006 0001E506
	v_add_f32_e64 v7, v7, 1.0                                  // 000000009B20: D1010007 0001E507
	v_rcp_f32_e32 v4, v4                                       // 000000009B28: 7E084504
	v_rcp_f32_e32 v5, v5                                       // 000000009B2C: 7E0A4505
	v_rcp_f32_e32 v6, v6                                       // 000000009B30: 7E0C4506
	v_rcp_f32_e32 v7, v7                                       // 000000009B34: 7E0E4507
	v_mul_f32_e32 v104, v104, v4                               // 000000009B38: 0AD00968
	v_mul_f32_e32 v105, v105, v5                               // 000000009B3C: 0AD20B69
	v_mul_f32_e32 v106, v106, v6                               // 000000009B40: 0AD40D6A
	v_mul_f32_e32 v107, v107, v7                               // 000000009B44: 0AD60F6B
	v_mul_f32_e32 v104, v104, v160                             // 000000009B48: 0AD14168
	v_mul_f32_e32 v105, v105, v161                             // 000000009B4C: 0AD34369
	v_mul_f32_e32 v106, v106, v162                             // 000000009B50: 0AD5456A
	v_mul_f32_e32 v107, v107, v163                             // 000000009B54: 0AD7476B
	v_pk_mul_f32 v[4:5], v[108:109], v[108:109]                // 000000009B58: D3B14004 1802D96C
	v_pk_mul_f32 v[6:7], v[110:111], v[110:111]                // 000000009B60: D3B14006 1802DD6E
	v_pk_fma_f32 v[4:5], v[4:5], s[78:79], v[8:9]              // 000000009B68: D3B04004 1C209D04
	v_pk_fma_f32 v[6:7], v[6:7], s[78:79], v[8:9]              // 000000009B70: D3B04006 1C209D06
	v_pk_mul_f32 v[4:5], v[4:5], v[108:109]                    // 000000009B78: D3B14004 1802D904
	v_pk_mul_f32 v[6:7], v[6:7], v[110:111]                    // 000000009B80: D3B14006 1802DD06
	v_pk_mul_f32 v[4:5], v[4:5], s[60:61]                      // 000000009B88: D3B14004 18007904
	v_pk_mul_f32 v[6:7], v[6:7], s[60:61]                      // 000000009B90: D3B14006 18007906
	v_exp_f32_e32 v4, v4                                       // 000000009B98: 7E084104
	v_exp_f32_e32 v5, v5                                       // 000000009B9C: 7E0A4105
	v_exp_f32_e32 v6, v6                                       // 000000009BA0: 7E0C4106
	v_exp_f32_e32 v7, v7                                       // 000000009BA4: 7E0E4107
	v_add_f32_e64 v4, v4, 1.0                                  // 000000009BA8: D1010004 0001E504
	v_add_f32_e64 v5, v5, 1.0                                  // 000000009BB0: D1010005 0001E505
	v_add_f32_e64 v6, v6, 1.0                                  // 000000009BB8: D1010006 0001E506
	v_add_f32_e64 v7, v7, 1.0                                  // 000000009BC0: D1010007 0001E507
	v_rcp_f32_e32 v4, v4                                       // 000000009BC8: 7E084504
	v_rcp_f32_e32 v5, v5                                       // 000000009BCC: 7E0A4505
	v_rcp_f32_e32 v6, v6                                       // 000000009BD0: 7E0C4506
	v_rcp_f32_e32 v7, v7                                       // 000000009BD4: 7E0E4507
	v_mul_f32_e32 v108, v108, v4                               // 000000009BD8: 0AD8096C
	v_mul_f32_e32 v109, v109, v5                               // 000000009BDC: 0ADA0B6D
	v_mul_f32_e32 v110, v110, v6                               // 000000009BE0: 0ADC0D6E
	v_mul_f32_e32 v111, v111, v7                               // 000000009BE4: 0ADE0F6F
	v_mul_f32_e32 v108, v108, v164                             // 000000009BE8: 0AD9496C
	v_mul_f32_e32 v109, v109, v165                             // 000000009BEC: 0ADB4B6D
	v_mul_f32_e32 v110, v110, v166                             // 000000009BF0: 0ADD4D6E
	v_mul_f32_e32 v111, v111, v167                             // 000000009BF4: 0ADF4F6F
	v_pk_mul_f32 v[4:5], v[112:113], v[112:113]                // 000000009BF8: D3B14004 1802E170
	v_pk_mul_f32 v[6:7], v[114:115], v[114:115]                // 000000009C00: D3B14006 1802E572
	v_pk_fma_f32 v[4:5], v[4:5], s[78:79], v[8:9]              // 000000009C08: D3B04004 1C209D04
	v_pk_fma_f32 v[6:7], v[6:7], s[78:79], v[8:9]              // 000000009C10: D3B04006 1C209D06
	v_pk_mul_f32 v[4:5], v[4:5], v[112:113]                    // 000000009C18: D3B14004 1802E104
	v_pk_mul_f32 v[6:7], v[6:7], v[114:115]                    // 000000009C20: D3B14006 1802E506
	v_pk_mul_f32 v[4:5], v[4:5], s[60:61]                      // 000000009C28: D3B14004 18007904
	v_pk_mul_f32 v[6:7], v[6:7], s[60:61]                      // 000000009C30: D3B14006 18007906
	v_exp_f32_e32 v4, v4                                       // 000000009C38: 7E084104
	v_exp_f32_e32 v5, v5                                       // 000000009C3C: 7E0A4105
	v_exp_f32_e32 v6, v6                                       // 000000009C40: 7E0C4106
	v_exp_f32_e32 v7, v7                                       // 000000009C44: 7E0E4107
	v_add_f32_e64 v4, v4, 1.0                                  // 000000009C48: D1010004 0001E504
	v_add_f32_e64 v5, v5, 1.0                                  // 000000009C50: D1010005 0001E505
	v_add_f32_e64 v6, v6, 1.0                                  // 000000009C58: D1010006 0001E506
	v_add_f32_e64 v7, v7, 1.0                                  // 000000009C60: D1010007 0001E507
	v_rcp_f32_e32 v4, v4                                       // 000000009C68: 7E084504
	v_rcp_f32_e32 v5, v5                                       // 000000009C6C: 7E0A4505
	v_rcp_f32_e32 v6, v6                                       // 000000009C70: 7E0C4506
	v_rcp_f32_e32 v7, v7                                       // 000000009C74: 7E0E4507
	v_mul_f32_e32 v112, v112, v4                               // 000000009C78: 0AE00970
	v_mul_f32_e32 v113, v113, v5                               // 000000009C7C: 0AE20B71
	v_mul_f32_e32 v114, v114, v6                               // 000000009C80: 0AE40D72
	v_mul_f32_e32 v115, v115, v7                               // 000000009C84: 0AE60F73
	v_mul_f32_e32 v112, v112, v168                             // 000000009C88: 0AE15170
	v_mul_f32_e32 v113, v113, v169                             // 000000009C8C: 0AE35371
	v_mul_f32_e32 v114, v114, v170                             // 000000009C90: 0AE55572
	v_mul_f32_e32 v115, v115, v171                             // 000000009C94: 0AE75773
	v_pk_mul_f32 v[4:5], v[116:117], v[116:117]                // 000000009C98: D3B14004 1802E974
	v_pk_mul_f32 v[6:7], v[118:119], v[118:119]                // 000000009CA0: D3B14006 1802ED76
	v_pk_fma_f32 v[4:5], v[4:5], s[78:79], v[8:9]              // 000000009CA8: D3B04004 1C209D04
	v_pk_fma_f32 v[6:7], v[6:7], s[78:79], v[8:9]              // 000000009CB0: D3B04006 1C209D06
	v_pk_mul_f32 v[4:5], v[4:5], v[116:117]                    // 000000009CB8: D3B14004 1802E904
	v_pk_mul_f32 v[6:7], v[6:7], v[118:119]                    // 000000009CC0: D3B14006 1802ED06
	v_pk_mul_f32 v[4:5], v[4:5], s[60:61]                      // 000000009CC8: D3B14004 18007904
	v_pk_mul_f32 v[6:7], v[6:7], s[60:61]                      // 000000009CD0: D3B14006 18007906
	v_exp_f32_e32 v4, v4                                       // 000000009CD8: 7E084104
	v_exp_f32_e32 v5, v5                                       // 000000009CDC: 7E0A4105
	v_exp_f32_e32 v6, v6                                       // 000000009CE0: 7E0C4106
	v_exp_f32_e32 v7, v7                                       // 000000009CE4: 7E0E4107
	v_add_f32_e64 v4, v4, 1.0                                  // 000000009CE8: D1010004 0001E504
	v_add_f32_e64 v5, v5, 1.0                                  // 000000009CF0: D1010005 0001E505
	v_add_f32_e64 v6, v6, 1.0                                  // 000000009CF8: D1010006 0001E506
	v_add_f32_e64 v7, v7, 1.0                                  // 000000009D00: D1010007 0001E507
	v_rcp_f32_e32 v4, v4                                       // 000000009D08: 7E084504
	v_rcp_f32_e32 v5, v5                                       // 000000009D0C: 7E0A4505
	v_rcp_f32_e32 v6, v6                                       // 000000009D10: 7E0C4506
	v_rcp_f32_e32 v7, v7                                       // 000000009D14: 7E0E4507
	v_mul_f32_e32 v116, v116, v4                               // 000000009D18: 0AE80974
	v_mul_f32_e32 v117, v117, v5                               // 000000009D1C: 0AEA0B75
	v_mul_f32_e32 v118, v118, v6                               // 000000009D20: 0AEC0D76
	v_mul_f32_e32 v119, v119, v7                               // 000000009D24: 0AEE0F77
	v_mul_f32_e32 v116, v116, v172                             // 000000009D28: 0AE95974
	v_mul_f32_e32 v117, v117, v173                             // 000000009D2C: 0AEB5B75
	v_mul_f32_e32 v118, v118, v174                             // 000000009D30: 0AED5D76
	v_mul_f32_e32 v119, v119, v175                             // 000000009D34: 0AEF5F77
	v_pk_mul_f32 v[4:5], v[120:121], v[120:121]                // 000000009D38: D3B14004 1802F178
	v_pk_mul_f32 v[6:7], v[122:123], v[122:123]                // 000000009D40: D3B14006 1802F57A
	v_pk_fma_f32 v[4:5], v[4:5], s[78:79], v[8:9]              // 000000009D48: D3B04004 1C209D04
	v_pk_fma_f32 v[6:7], v[6:7], s[78:79], v[8:9]              // 000000009D50: D3B04006 1C209D06
	v_pk_mul_f32 v[4:5], v[4:5], v[120:121]                    // 000000009D58: D3B14004 1802F104
	v_pk_mul_f32 v[6:7], v[6:7], v[122:123]                    // 000000009D60: D3B14006 1802F506
	v_pk_mul_f32 v[4:5], v[4:5], s[60:61]                      // 000000009D68: D3B14004 18007904
	v_pk_mul_f32 v[6:7], v[6:7], s[60:61]                      // 000000009D70: D3B14006 18007906
	v_exp_f32_e32 v4, v4                                       // 000000009D78: 7E084104
	v_exp_f32_e32 v5, v5                                       // 000000009D7C: 7E0A4105
	v_exp_f32_e32 v6, v6                                       // 000000009D80: 7E0C4106
	v_exp_f32_e32 v7, v7                                       // 000000009D84: 7E0E4107
	v_add_f32_e64 v4, v4, 1.0                                  // 000000009D88: D1010004 0001E504
	v_add_f32_e64 v5, v5, 1.0                                  // 000000009D90: D1010005 0001E505
	v_add_f32_e64 v6, v6, 1.0                                  // 000000009D98: D1010006 0001E506
	v_add_f32_e64 v7, v7, 1.0                                  // 000000009DA0: D1010007 0001E507
	v_rcp_f32_e32 v4, v4                                       // 000000009DA8: 7E084504
	v_rcp_f32_e32 v5, v5                                       // 000000009DAC: 7E0A4505
	v_rcp_f32_e32 v6, v6                                       // 000000009DB0: 7E0C4506
	v_rcp_f32_e32 v7, v7                                       // 000000009DB4: 7E0E4507
	v_mul_f32_e32 v120, v120, v4                               // 000000009DB8: 0AF00978
	v_mul_f32_e32 v121, v121, v5                               // 000000009DBC: 0AF20B79
	v_mul_f32_e32 v122, v122, v6                               // 000000009DC0: 0AF40D7A
	v_mul_f32_e32 v123, v123, v7                               // 000000009DC4: 0AF60F7B
	v_mul_f32_e32 v120, v120, v176                             // 000000009DC8: 0AF16178
	v_mul_f32_e32 v121, v121, v177                             // 000000009DCC: 0AF36379
	v_mul_f32_e32 v122, v122, v178                             // 000000009DD0: 0AF5657A
	v_mul_f32_e32 v123, v123, v179                             // 000000009DD4: 0AF7677B
	v_pk_mul_f32 v[4:5], v[124:125], v[124:125]                // 000000009DD8: D3B14004 1802F97C
	v_pk_mul_f32 v[6:7], v[126:127], v[126:127]                // 000000009DE0: D3B14006 1802FD7E
	v_pk_fma_f32 v[4:5], v[4:5], s[78:79], v[8:9]              // 000000009DE8: D3B04004 1C209D04
	v_pk_fma_f32 v[6:7], v[6:7], s[78:79], v[8:9]              // 000000009DF0: D3B04006 1C209D06
	v_pk_mul_f32 v[4:5], v[4:5], v[124:125]                    // 000000009DF8: D3B14004 1802F904
	v_pk_mul_f32 v[6:7], v[6:7], v[126:127]                    // 000000009E00: D3B14006 1802FD06
	v_pk_mul_f32 v[4:5], v[4:5], s[60:61]                      // 000000009E08: D3B14004 18007904
	v_pk_mul_f32 v[6:7], v[6:7], s[60:61]                      // 000000009E10: D3B14006 18007906
	v_exp_f32_e32 v4, v4                                       // 000000009E18: 7E084104
	v_exp_f32_e32 v5, v5                                       // 000000009E1C: 7E0A4105
	v_exp_f32_e32 v6, v6                                       // 000000009E20: 7E0C4106
	v_exp_f32_e32 v7, v7                                       // 000000009E24: 7E0E4107
	v_add_f32_e64 v4, v4, 1.0                                  // 000000009E28: D1010004 0001E504
	v_add_f32_e64 v5, v5, 1.0                                  // 000000009E30: D1010005 0001E505
	v_add_f32_e64 v6, v6, 1.0                                  // 000000009E38: D1010006 0001E506
	v_add_f32_e64 v7, v7, 1.0                                  // 000000009E40: D1010007 0001E507
	v_rcp_f32_e32 v4, v4                                       // 000000009E48: 7E084504
	v_rcp_f32_e32 v5, v5                                       // 000000009E4C: 7E0A4505
	v_rcp_f32_e32 v6, v6                                       // 000000009E50: 7E0C4506
	v_rcp_f32_e32 v7, v7                                       // 000000009E54: 7E0E4507
	v_mul_f32_e32 v124, v124, v4                               // 000000009E58: 0AF8097C
	v_mul_f32_e32 v125, v125, v5                               // 000000009E5C: 0AFA0B7D
	v_mul_f32_e32 v126, v126, v6                               // 000000009E60: 0AFC0D7E
	v_mul_f32_e32 v127, v127, v7                               // 000000009E64: 0AFE0F7F
	v_mul_f32_e32 v124, v124, v180                             // 000000009E68: 0AF9697C
	v_mul_f32_e32 v125, v125, v181                             // 000000009E6C: 0AFB6B7D
	v_mul_f32_e32 v126, v126, v182                             // 000000009E70: 0AFD6D7E
	v_mul_f32_e32 v127, v127, v183                             // 000000009E74: 0AFF6F7F
	s_branch label_1EE2                                        // 000000009E78: BF8201C0

0000000000009e7c <label_1D22>:
	v_mul_f32_e64 v4, -v72, s6                                 // 000000009E7C: D1050004 20000D48
	v_mul_f32_e64 v5, -v73, s6                                 // 000000009E84: D1050005 20000D49
	v_mul_f32_e64 v6, -v74, s6                                 // 000000009E8C: D1050006 20000D4A
	v_mul_f32_e64 v7, -v75, s6                                 // 000000009E94: D1050007 20000D4B
	v_exp_f32_e32 v4, v4                                       // 000000009E9C: 7E084104
	v_exp_f32_e32 v5, v5                                       // 000000009EA0: 7E0A4105
	v_exp_f32_e32 v6, v6                                       // 000000009EA4: 7E0C4106
	v_exp_f32_e32 v7, v7                                       // 000000009EA8: 7E0E4107
	v_add_f32_e64 v4, v4, 1.0                                  // 000000009EAC: D1010004 0001E504
	v_add_f32_e64 v5, v5, 1.0                                  // 000000009EB4: D1010005 0001E505
	v_add_f32_e64 v6, v6, 1.0                                  // 000000009EBC: D1010006 0001E506
	v_add_f32_e64 v7, v7, 1.0                                  // 000000009EC4: D1010007 0001E507
	v_rcp_f32_e32 v4, v4                                       // 000000009ECC: 7E084504
	v_rcp_f32_e32 v5, v5                                       // 000000009ED0: 7E0A4505
	v_rcp_f32_e32 v6, v6                                       // 000000009ED4: 7E0C4506
	v_rcp_f32_e32 v7, v7                                       // 000000009ED8: 7E0E4507
	v_mul_f32_e32 v72, v72, v4                                 // 000000009EDC: 0A900948
	v_mul_f32_e32 v73, v73, v5                                 // 000000009EE0: 0A920B49
	v_mul_f32_e32 v74, v74, v6                                 // 000000009EE4: 0A940D4A
	v_mul_f32_e32 v75, v75, v7                                 // 000000009EE8: 0A960F4B
	v_mul_f32_e32 v72, v72, v128                               // 000000009EEC: 0A910148
	v_mul_f32_e32 v73, v73, v129                               // 000000009EF0: 0A930349
	v_mul_f32_e32 v74, v74, v130                               // 000000009EF4: 0A95054A
	v_mul_f32_e32 v75, v75, v131                               // 000000009EF8: 0A97074B
	v_mul_f32_e64 v4, -v76, s6                                 // 000000009EFC: D1050004 20000D4C
	v_mul_f32_e64 v5, -v77, s6                                 // 000000009F04: D1050005 20000D4D
	v_mul_f32_e64 v6, -v78, s6                                 // 000000009F0C: D1050006 20000D4E
	v_mul_f32_e64 v7, -v79, s6                                 // 000000009F14: D1050007 20000D4F
	v_exp_f32_e32 v4, v4                                       // 000000009F1C: 7E084104
	v_exp_f32_e32 v5, v5                                       // 000000009F20: 7E0A4105
	v_exp_f32_e32 v6, v6                                       // 000000009F24: 7E0C4106
	v_exp_f32_e32 v7, v7                                       // 000000009F28: 7E0E4107
	v_add_f32_e64 v4, v4, 1.0                                  // 000000009F2C: D1010004 0001E504
	v_add_f32_e64 v5, v5, 1.0                                  // 000000009F34: D1010005 0001E505
	v_add_f32_e64 v6, v6, 1.0                                  // 000000009F3C: D1010006 0001E506
	v_add_f32_e64 v7, v7, 1.0                                  // 000000009F44: D1010007 0001E507
	v_rcp_f32_e32 v4, v4                                       // 000000009F4C: 7E084504
	v_rcp_f32_e32 v5, v5                                       // 000000009F50: 7E0A4505
	v_rcp_f32_e32 v6, v6                                       // 000000009F54: 7E0C4506
	v_rcp_f32_e32 v7, v7                                       // 000000009F58: 7E0E4507
	v_mul_f32_e32 v76, v76, v4                                 // 000000009F5C: 0A98094C
	v_mul_f32_e32 v77, v77, v5                                 // 000000009F60: 0A9A0B4D
	v_mul_f32_e32 v78, v78, v6                                 // 000000009F64: 0A9C0D4E
	v_mul_f32_e32 v79, v79, v7                                 // 000000009F68: 0A9E0F4F
	v_mul_f32_e32 v76, v76, v132                               // 000000009F6C: 0A99094C
	v_mul_f32_e32 v77, v77, v133                               // 000000009F70: 0A9B0B4D
	v_mul_f32_e32 v78, v78, v134                               // 000000009F74: 0A9D0D4E
	v_mul_f32_e32 v79, v79, v135                               // 000000009F78: 0A9F0F4F
	v_mul_f32_e64 v4, -v80, s6                                 // 000000009F7C: D1050004 20000D50
	v_mul_f32_e64 v5, -v81, s6                                 // 000000009F84: D1050005 20000D51
	v_mul_f32_e64 v6, -v82, s6                                 // 000000009F8C: D1050006 20000D52
	v_mul_f32_e64 v7, -v83, s6                                 // 000000009F94: D1050007 20000D53
	v_exp_f32_e32 v4, v4                                       // 000000009F9C: 7E084104
	v_exp_f32_e32 v5, v5                                       // 000000009FA0: 7E0A4105
	v_exp_f32_e32 v6, v6                                       // 000000009FA4: 7E0C4106
	v_exp_f32_e32 v7, v7                                       // 000000009FA8: 7E0E4107
	v_add_f32_e64 v4, v4, 1.0                                  // 000000009FAC: D1010004 0001E504
	v_add_f32_e64 v5, v5, 1.0                                  // 000000009FB4: D1010005 0001E505
	v_add_f32_e64 v6, v6, 1.0                                  // 000000009FBC: D1010006 0001E506
	v_add_f32_e64 v7, v7, 1.0                                  // 000000009FC4: D1010007 0001E507
	v_rcp_f32_e32 v4, v4                                       // 000000009FCC: 7E084504
	v_rcp_f32_e32 v5, v5                                       // 000000009FD0: 7E0A4505
	v_rcp_f32_e32 v6, v6                                       // 000000009FD4: 7E0C4506
	v_rcp_f32_e32 v7, v7                                       // 000000009FD8: 7E0E4507
	v_mul_f32_e32 v80, v80, v4                                 // 000000009FDC: 0AA00950
	v_mul_f32_e32 v81, v81, v5                                 // 000000009FE0: 0AA20B51
	v_mul_f32_e32 v82, v82, v6                                 // 000000009FE4: 0AA40D52
	v_mul_f32_e32 v83, v83, v7                                 // 000000009FE8: 0AA60F53
	v_mul_f32_e32 v80, v80, v136                               // 000000009FEC: 0AA11150
	v_mul_f32_e32 v81, v81, v137                               // 000000009FF0: 0AA31351
	v_mul_f32_e32 v82, v82, v138                               // 000000009FF4: 0AA51552
	v_mul_f32_e32 v83, v83, v139                               // 000000009FF8: 0AA71753
	v_mul_f32_e64 v4, -v84, s6                                 // 000000009FFC: D1050004 20000D54
	v_mul_f32_e64 v5, -v85, s6                                 // 00000000A004: D1050005 20000D55
	v_mul_f32_e64 v6, -v86, s6                                 // 00000000A00C: D1050006 20000D56
	v_mul_f32_e64 v7, -v87, s6                                 // 00000000A014: D1050007 20000D57
	v_exp_f32_e32 v4, v4                                       // 00000000A01C: 7E084104
	v_exp_f32_e32 v5, v5                                       // 00000000A020: 7E0A4105
	v_exp_f32_e32 v6, v6                                       // 00000000A024: 7E0C4106
	v_exp_f32_e32 v7, v7                                       // 00000000A028: 7E0E4107
	v_add_f32_e64 v4, v4, 1.0                                  // 00000000A02C: D1010004 0001E504
	v_add_f32_e64 v5, v5, 1.0                                  // 00000000A034: D1010005 0001E505
	v_add_f32_e64 v6, v6, 1.0                                  // 00000000A03C: D1010006 0001E506
	v_add_f32_e64 v7, v7, 1.0                                  // 00000000A044: D1010007 0001E507
	v_rcp_f32_e32 v4, v4                                       // 00000000A04C: 7E084504
	v_rcp_f32_e32 v5, v5                                       // 00000000A050: 7E0A4505
	v_rcp_f32_e32 v6, v6                                       // 00000000A054: 7E0C4506
	v_rcp_f32_e32 v7, v7                                       // 00000000A058: 7E0E4507
	v_mul_f32_e32 v84, v84, v4                                 // 00000000A05C: 0AA80954
	v_mul_f32_e32 v85, v85, v5                                 // 00000000A060: 0AAA0B55
	v_mul_f32_e32 v86, v86, v6                                 // 00000000A064: 0AAC0D56
	v_mul_f32_e32 v87, v87, v7                                 // 00000000A068: 0AAE0F57
	v_mul_f32_e32 v84, v84, v140                               // 00000000A06C: 0AA91954
	v_mul_f32_e32 v85, v85, v141                               // 00000000A070: 0AAB1B55
	v_mul_f32_e32 v86, v86, v142                               // 00000000A074: 0AAD1D56
	v_mul_f32_e32 v87, v87, v143                               // 00000000A078: 0AAF1F57
	v_mul_f32_e64 v4, -v88, s6                                 // 00000000A07C: D1050004 20000D58
	v_mul_f32_e64 v5, -v89, s6                                 // 00000000A084: D1050005 20000D59
	v_mul_f32_e64 v6, -v90, s6                                 // 00000000A08C: D1050006 20000D5A
	v_mul_f32_e64 v7, -v91, s6                                 // 00000000A094: D1050007 20000D5B
	v_exp_f32_e32 v4, v4                                       // 00000000A09C: 7E084104
	v_exp_f32_e32 v5, v5                                       // 00000000A0A0: 7E0A4105
	v_exp_f32_e32 v6, v6                                       // 00000000A0A4: 7E0C4106
	v_exp_f32_e32 v7, v7                                       // 00000000A0A8: 7E0E4107
	v_add_f32_e64 v4, v4, 1.0                                  // 00000000A0AC: D1010004 0001E504
	v_add_f32_e64 v5, v5, 1.0                                  // 00000000A0B4: D1010005 0001E505
	v_add_f32_e64 v6, v6, 1.0                                  // 00000000A0BC: D1010006 0001E506
	v_add_f32_e64 v7, v7, 1.0                                  // 00000000A0C4: D1010007 0001E507
	v_rcp_f32_e32 v4, v4                                       // 00000000A0CC: 7E084504
	v_rcp_f32_e32 v5, v5                                       // 00000000A0D0: 7E0A4505
	v_rcp_f32_e32 v6, v6                                       // 00000000A0D4: 7E0C4506
	v_rcp_f32_e32 v7, v7                                       // 00000000A0D8: 7E0E4507
	v_mul_f32_e32 v88, v88, v4                                 // 00000000A0DC: 0AB00958
	v_mul_f32_e32 v89, v89, v5                                 // 00000000A0E0: 0AB20B59
	v_mul_f32_e32 v90, v90, v6                                 // 00000000A0E4: 0AB40D5A
	v_mul_f32_e32 v91, v91, v7                                 // 00000000A0E8: 0AB60F5B
	v_mul_f32_e32 v88, v88, v144                               // 00000000A0EC: 0AB12158
	v_mul_f32_e32 v89, v89, v145                               // 00000000A0F0: 0AB32359
	v_mul_f32_e32 v90, v90, v146                               // 00000000A0F4: 0AB5255A
	v_mul_f32_e32 v91, v91, v147                               // 00000000A0F8: 0AB7275B
	v_mul_f32_e64 v4, -v92, s6                                 // 00000000A0FC: D1050004 20000D5C
	v_mul_f32_e64 v5, -v93, s6                                 // 00000000A104: D1050005 20000D5D
	v_mul_f32_e64 v6, -v94, s6                                 // 00000000A10C: D1050006 20000D5E
	v_mul_f32_e64 v7, -v95, s6                                 // 00000000A114: D1050007 20000D5F
	v_exp_f32_e32 v4, v4                                       // 00000000A11C: 7E084104
	v_exp_f32_e32 v5, v5                                       // 00000000A120: 7E0A4105
	v_exp_f32_e32 v6, v6                                       // 00000000A124: 7E0C4106
	v_exp_f32_e32 v7, v7                                       // 00000000A128: 7E0E4107
	v_add_f32_e64 v4, v4, 1.0                                  // 00000000A12C: D1010004 0001E504
	v_add_f32_e64 v5, v5, 1.0                                  // 00000000A134: D1010005 0001E505
	v_add_f32_e64 v6, v6, 1.0                                  // 00000000A13C: D1010006 0001E506
	v_add_f32_e64 v7, v7, 1.0                                  // 00000000A144: D1010007 0001E507
	v_rcp_f32_e32 v4, v4                                       // 00000000A14C: 7E084504
	v_rcp_f32_e32 v5, v5                                       // 00000000A150: 7E0A4505
	v_rcp_f32_e32 v6, v6                                       // 00000000A154: 7E0C4506
	v_rcp_f32_e32 v7, v7                                       // 00000000A158: 7E0E4507
	v_mul_f32_e32 v92, v92, v4                                 // 00000000A15C: 0AB8095C
	v_mul_f32_e32 v93, v93, v5                                 // 00000000A160: 0ABA0B5D
	v_mul_f32_e32 v94, v94, v6                                 // 00000000A164: 0ABC0D5E
	v_mul_f32_e32 v95, v95, v7                                 // 00000000A168: 0ABE0F5F
	v_mul_f32_e32 v92, v92, v148                               // 00000000A16C: 0AB9295C
	v_mul_f32_e32 v93, v93, v149                               // 00000000A170: 0ABB2B5D
	v_mul_f32_e32 v94, v94, v150                               // 00000000A174: 0ABD2D5E
	v_mul_f32_e32 v95, v95, v151                               // 00000000A178: 0ABF2F5F
	v_mul_f32_e64 v4, -v96, s6                                 // 00000000A17C: D1050004 20000D60
	v_mul_f32_e64 v5, -v97, s6                                 // 00000000A184: D1050005 20000D61
	v_mul_f32_e64 v6, -v98, s6                                 // 00000000A18C: D1050006 20000D62
	v_mul_f32_e64 v7, -v99, s6                                 // 00000000A194: D1050007 20000D63
	v_exp_f32_e32 v4, v4                                       // 00000000A19C: 7E084104
	v_exp_f32_e32 v5, v5                                       // 00000000A1A0: 7E0A4105
	v_exp_f32_e32 v6, v6                                       // 00000000A1A4: 7E0C4106
	v_exp_f32_e32 v7, v7                                       // 00000000A1A8: 7E0E4107
	v_add_f32_e64 v4, v4, 1.0                                  // 00000000A1AC: D1010004 0001E504
	v_add_f32_e64 v5, v5, 1.0                                  // 00000000A1B4: D1010005 0001E505
	v_add_f32_e64 v6, v6, 1.0                                  // 00000000A1BC: D1010006 0001E506
	v_add_f32_e64 v7, v7, 1.0                                  // 00000000A1C4: D1010007 0001E507
	v_rcp_f32_e32 v4, v4                                       // 00000000A1CC: 7E084504
	v_rcp_f32_e32 v5, v5                                       // 00000000A1D0: 7E0A4505
	v_rcp_f32_e32 v6, v6                                       // 00000000A1D4: 7E0C4506
	v_rcp_f32_e32 v7, v7                                       // 00000000A1D8: 7E0E4507
	v_mul_f32_e32 v96, v96, v4                                 // 00000000A1DC: 0AC00960
	v_mul_f32_e32 v97, v97, v5                                 // 00000000A1E0: 0AC20B61
	v_mul_f32_e32 v98, v98, v6                                 // 00000000A1E4: 0AC40D62
	v_mul_f32_e32 v99, v99, v7                                 // 00000000A1E8: 0AC60F63
	v_mul_f32_e32 v96, v96, v152                               // 00000000A1EC: 0AC13160
	v_mul_f32_e32 v97, v97, v153                               // 00000000A1F0: 0AC33361
	v_mul_f32_e32 v98, v98, v154                               // 00000000A1F4: 0AC53562
	v_mul_f32_e32 v99, v99, v155                               // 00000000A1F8: 0AC73763
	v_mul_f32_e64 v4, -v100, s6                                // 00000000A1FC: D1050004 20000D64
	v_mul_f32_e64 v5, -v101, s6                                // 00000000A204: D1050005 20000D65
	v_mul_f32_e64 v6, -v102, s6                                // 00000000A20C: D1050006 20000D66
	v_mul_f32_e64 v7, -v103, s6                                // 00000000A214: D1050007 20000D67
	v_exp_f32_e32 v4, v4                                       // 00000000A21C: 7E084104
	v_exp_f32_e32 v5, v5                                       // 00000000A220: 7E0A4105
	v_exp_f32_e32 v6, v6                                       // 00000000A224: 7E0C4106
	v_exp_f32_e32 v7, v7                                       // 00000000A228: 7E0E4107
	v_add_f32_e64 v4, v4, 1.0                                  // 00000000A22C: D1010004 0001E504
	v_add_f32_e64 v5, v5, 1.0                                  // 00000000A234: D1010005 0001E505
	v_add_f32_e64 v6, v6, 1.0                                  // 00000000A23C: D1010006 0001E506
	v_add_f32_e64 v7, v7, 1.0                                  // 00000000A244: D1010007 0001E507
	v_rcp_f32_e32 v4, v4                                       // 00000000A24C: 7E084504
	v_rcp_f32_e32 v5, v5                                       // 00000000A250: 7E0A4505
	v_rcp_f32_e32 v6, v6                                       // 00000000A254: 7E0C4506
	v_rcp_f32_e32 v7, v7                                       // 00000000A258: 7E0E4507
	v_mul_f32_e32 v100, v100, v4                               // 00000000A25C: 0AC80964
	v_mul_f32_e32 v101, v101, v5                               // 00000000A260: 0ACA0B65
	v_mul_f32_e32 v102, v102, v6                               // 00000000A264: 0ACC0D66
	v_mul_f32_e32 v103, v103, v7                               // 00000000A268: 0ACE0F67
	v_mul_f32_e32 v100, v100, v156                             // 00000000A26C: 0AC93964
	v_mul_f32_e32 v101, v101, v157                             // 00000000A270: 0ACB3B65
	v_mul_f32_e32 v102, v102, v158                             // 00000000A274: 0ACD3D66
	v_mul_f32_e32 v103, v103, v159                             // 00000000A278: 0ACF3F67
	v_mul_f32_e64 v4, -v104, s6                                // 00000000A27C: D1050004 20000D68
	v_mul_f32_e64 v5, -v105, s6                                // 00000000A284: D1050005 20000D69
	v_mul_f32_e64 v6, -v106, s6                                // 00000000A28C: D1050006 20000D6A
	v_mul_f32_e64 v7, -v107, s6                                // 00000000A294: D1050007 20000D6B
	v_exp_f32_e32 v4, v4                                       // 00000000A29C: 7E084104
	v_exp_f32_e32 v5, v5                                       // 00000000A2A0: 7E0A4105
	v_exp_f32_e32 v6, v6                                       // 00000000A2A4: 7E0C4106
	v_exp_f32_e32 v7, v7                                       // 00000000A2A8: 7E0E4107
	v_add_f32_e64 v4, v4, 1.0                                  // 00000000A2AC: D1010004 0001E504
	v_add_f32_e64 v5, v5, 1.0                                  // 00000000A2B4: D1010005 0001E505
	v_add_f32_e64 v6, v6, 1.0                                  // 00000000A2BC: D1010006 0001E506
	v_add_f32_e64 v7, v7, 1.0                                  // 00000000A2C4: D1010007 0001E507
	v_rcp_f32_e32 v4, v4                                       // 00000000A2CC: 7E084504
	v_rcp_f32_e32 v5, v5                                       // 00000000A2D0: 7E0A4505
	v_rcp_f32_e32 v6, v6                                       // 00000000A2D4: 7E0C4506
	v_rcp_f32_e32 v7, v7                                       // 00000000A2D8: 7E0E4507
	v_mul_f32_e32 v104, v104, v4                               // 00000000A2DC: 0AD00968
	v_mul_f32_e32 v105, v105, v5                               // 00000000A2E0: 0AD20B69
	v_mul_f32_e32 v106, v106, v6                               // 00000000A2E4: 0AD40D6A
	v_mul_f32_e32 v107, v107, v7                               // 00000000A2E8: 0AD60F6B
	v_mul_f32_e32 v104, v104, v160                             // 00000000A2EC: 0AD14168
	v_mul_f32_e32 v105, v105, v161                             // 00000000A2F0: 0AD34369
	v_mul_f32_e32 v106, v106, v162                             // 00000000A2F4: 0AD5456A
	v_mul_f32_e32 v107, v107, v163                             // 00000000A2F8: 0AD7476B
	v_mul_f32_e64 v4, -v108, s6                                // 00000000A2FC: D1050004 20000D6C
	v_mul_f32_e64 v5, -v109, s6                                // 00000000A304: D1050005 20000D6D
	v_mul_f32_e64 v6, -v110, s6                                // 00000000A30C: D1050006 20000D6E
	v_mul_f32_e64 v7, -v111, s6                                // 00000000A314: D1050007 20000D6F
	v_exp_f32_e32 v4, v4                                       // 00000000A31C: 7E084104
	v_exp_f32_e32 v5, v5                                       // 00000000A320: 7E0A4105
	v_exp_f32_e32 v6, v6                                       // 00000000A324: 7E0C4106
	v_exp_f32_e32 v7, v7                                       // 00000000A328: 7E0E4107
	v_add_f32_e64 v4, v4, 1.0                                  // 00000000A32C: D1010004 0001E504
	v_add_f32_e64 v5, v5, 1.0                                  // 00000000A334: D1010005 0001E505
	v_add_f32_e64 v6, v6, 1.0                                  // 00000000A33C: D1010006 0001E506
	v_add_f32_e64 v7, v7, 1.0                                  // 00000000A344: D1010007 0001E507
	v_rcp_f32_e32 v4, v4                                       // 00000000A34C: 7E084504
	v_rcp_f32_e32 v5, v5                                       // 00000000A350: 7E0A4505
	v_rcp_f32_e32 v6, v6                                       // 00000000A354: 7E0C4506
	v_rcp_f32_e32 v7, v7                                       // 00000000A358: 7E0E4507
	v_mul_f32_e32 v108, v108, v4                               // 00000000A35C: 0AD8096C
	v_mul_f32_e32 v109, v109, v5                               // 00000000A360: 0ADA0B6D
	v_mul_f32_e32 v110, v110, v6                               // 00000000A364: 0ADC0D6E
	v_mul_f32_e32 v111, v111, v7                               // 00000000A368: 0ADE0F6F
	v_mul_f32_e32 v108, v108, v164                             // 00000000A36C: 0AD9496C
	v_mul_f32_e32 v109, v109, v165                             // 00000000A370: 0ADB4B6D
	v_mul_f32_e32 v110, v110, v166                             // 00000000A374: 0ADD4D6E
	v_mul_f32_e32 v111, v111, v167                             // 00000000A378: 0ADF4F6F
	v_mul_f32_e64 v4, -v112, s6                                // 00000000A37C: D1050004 20000D70
	v_mul_f32_e64 v5, -v113, s6                                // 00000000A384: D1050005 20000D71
	v_mul_f32_e64 v6, -v114, s6                                // 00000000A38C: D1050006 20000D72
	v_mul_f32_e64 v7, -v115, s6                                // 00000000A394: D1050007 20000D73
	v_exp_f32_e32 v4, v4                                       // 00000000A39C: 7E084104
	v_exp_f32_e32 v5, v5                                       // 00000000A3A0: 7E0A4105
	v_exp_f32_e32 v6, v6                                       // 00000000A3A4: 7E0C4106
	v_exp_f32_e32 v7, v7                                       // 00000000A3A8: 7E0E4107
	v_add_f32_e64 v4, v4, 1.0                                  // 00000000A3AC: D1010004 0001E504
	v_add_f32_e64 v5, v5, 1.0                                  // 00000000A3B4: D1010005 0001E505
	v_add_f32_e64 v6, v6, 1.0                                  // 00000000A3BC: D1010006 0001E506
	v_add_f32_e64 v7, v7, 1.0                                  // 00000000A3C4: D1010007 0001E507
	v_rcp_f32_e32 v4, v4                                       // 00000000A3CC: 7E084504
	v_rcp_f32_e32 v5, v5                                       // 00000000A3D0: 7E0A4505
	v_rcp_f32_e32 v6, v6                                       // 00000000A3D4: 7E0C4506
	v_rcp_f32_e32 v7, v7                                       // 00000000A3D8: 7E0E4507
	v_mul_f32_e32 v112, v112, v4                               // 00000000A3DC: 0AE00970
	v_mul_f32_e32 v113, v113, v5                               // 00000000A3E0: 0AE20B71
	v_mul_f32_e32 v114, v114, v6                               // 00000000A3E4: 0AE40D72
	v_mul_f32_e32 v115, v115, v7                               // 00000000A3E8: 0AE60F73
	v_mul_f32_e32 v112, v112, v168                             // 00000000A3EC: 0AE15170
	v_mul_f32_e32 v113, v113, v169                             // 00000000A3F0: 0AE35371
	v_mul_f32_e32 v114, v114, v170                             // 00000000A3F4: 0AE55572
	v_mul_f32_e32 v115, v115, v171                             // 00000000A3F8: 0AE75773
	v_mul_f32_e64 v4, -v116, s6                                // 00000000A3FC: D1050004 20000D74
	v_mul_f32_e64 v5, -v117, s6                                // 00000000A404: D1050005 20000D75
	v_mul_f32_e64 v6, -v118, s6                                // 00000000A40C: D1050006 20000D76
	v_mul_f32_e64 v7, -v119, s6                                // 00000000A414: D1050007 20000D77
	v_exp_f32_e32 v4, v4                                       // 00000000A41C: 7E084104
	v_exp_f32_e32 v5, v5                                       // 00000000A420: 7E0A4105
	v_exp_f32_e32 v6, v6                                       // 00000000A424: 7E0C4106
	v_exp_f32_e32 v7, v7                                       // 00000000A428: 7E0E4107
	v_add_f32_e64 v4, v4, 1.0                                  // 00000000A42C: D1010004 0001E504
	v_add_f32_e64 v5, v5, 1.0                                  // 00000000A434: D1010005 0001E505
	v_add_f32_e64 v6, v6, 1.0                                  // 00000000A43C: D1010006 0001E506
	v_add_f32_e64 v7, v7, 1.0                                  // 00000000A444: D1010007 0001E507
	v_rcp_f32_e32 v4, v4                                       // 00000000A44C: 7E084504
	v_rcp_f32_e32 v5, v5                                       // 00000000A450: 7E0A4505
	v_rcp_f32_e32 v6, v6                                       // 00000000A454: 7E0C4506
	v_rcp_f32_e32 v7, v7                                       // 00000000A458: 7E0E4507
	v_mul_f32_e32 v116, v116, v4                               // 00000000A45C: 0AE80974
	v_mul_f32_e32 v117, v117, v5                               // 00000000A460: 0AEA0B75
	v_mul_f32_e32 v118, v118, v6                               // 00000000A464: 0AEC0D76
	v_mul_f32_e32 v119, v119, v7                               // 00000000A468: 0AEE0F77
	v_mul_f32_e32 v116, v116, v172                             // 00000000A46C: 0AE95974
	v_mul_f32_e32 v117, v117, v173                             // 00000000A470: 0AEB5B75
	v_mul_f32_e32 v118, v118, v174                             // 00000000A474: 0AED5D76
	v_mul_f32_e32 v119, v119, v175                             // 00000000A478: 0AEF5F77
	v_mul_f32_e64 v4, -v120, s6                                // 00000000A47C: D1050004 20000D78
	v_mul_f32_e64 v5, -v121, s6                                // 00000000A484: D1050005 20000D79
	v_mul_f32_e64 v6, -v122, s6                                // 00000000A48C: D1050006 20000D7A
	v_mul_f32_e64 v7, -v123, s6                                // 00000000A494: D1050007 20000D7B
	v_exp_f32_e32 v4, v4                                       // 00000000A49C: 7E084104
	v_exp_f32_e32 v5, v5                                       // 00000000A4A0: 7E0A4105
	v_exp_f32_e32 v6, v6                                       // 00000000A4A4: 7E0C4106
	v_exp_f32_e32 v7, v7                                       // 00000000A4A8: 7E0E4107
	v_add_f32_e64 v4, v4, 1.0                                  // 00000000A4AC: D1010004 0001E504
	v_add_f32_e64 v5, v5, 1.0                                  // 00000000A4B4: D1010005 0001E505
	v_add_f32_e64 v6, v6, 1.0                                  // 00000000A4BC: D1010006 0001E506
	v_add_f32_e64 v7, v7, 1.0                                  // 00000000A4C4: D1010007 0001E507
	v_rcp_f32_e32 v4, v4                                       // 00000000A4CC: 7E084504
	v_rcp_f32_e32 v5, v5                                       // 00000000A4D0: 7E0A4505
	v_rcp_f32_e32 v6, v6                                       // 00000000A4D4: 7E0C4506
	v_rcp_f32_e32 v7, v7                                       // 00000000A4D8: 7E0E4507
	v_mul_f32_e32 v120, v120, v4                               // 00000000A4DC: 0AF00978
	v_mul_f32_e32 v121, v121, v5                               // 00000000A4E0: 0AF20B79
	v_mul_f32_e32 v122, v122, v6                               // 00000000A4E4: 0AF40D7A
	v_mul_f32_e32 v123, v123, v7                               // 00000000A4E8: 0AF60F7B
	v_mul_f32_e32 v120, v120, v176                             // 00000000A4EC: 0AF16178
	v_mul_f32_e32 v121, v121, v177                             // 00000000A4F0: 0AF36379
	v_mul_f32_e32 v122, v122, v178                             // 00000000A4F4: 0AF5657A
	v_mul_f32_e32 v123, v123, v179                             // 00000000A4F8: 0AF7677B
	v_mul_f32_e64 v4, -v124, s6                                // 00000000A4FC: D1050004 20000D7C
	v_mul_f32_e64 v5, -v125, s6                                // 00000000A504: D1050005 20000D7D
	v_mul_f32_e64 v6, -v126, s6                                // 00000000A50C: D1050006 20000D7E
	v_mul_f32_e64 v7, -v127, s6                                // 00000000A514: D1050007 20000D7F
	v_exp_f32_e32 v4, v4                                       // 00000000A51C: 7E084104
	v_exp_f32_e32 v5, v5                                       // 00000000A520: 7E0A4105
	v_exp_f32_e32 v6, v6                                       // 00000000A524: 7E0C4106
	v_exp_f32_e32 v7, v7                                       // 00000000A528: 7E0E4107
	v_add_f32_e64 v4, v4, 1.0                                  // 00000000A52C: D1010004 0001E504
	v_add_f32_e64 v5, v5, 1.0                                  // 00000000A534: D1010005 0001E505
	v_add_f32_e64 v6, v6, 1.0                                  // 00000000A53C: D1010006 0001E506
	v_add_f32_e64 v7, v7, 1.0                                  // 00000000A544: D1010007 0001E507
	v_rcp_f32_e32 v4, v4                                       // 00000000A54C: 7E084504
	v_rcp_f32_e32 v5, v5                                       // 00000000A550: 7E0A4505
	v_rcp_f32_e32 v6, v6                                       // 00000000A554: 7E0C4506
	v_rcp_f32_e32 v7, v7                                       // 00000000A558: 7E0E4507
	v_mul_f32_e32 v124, v124, v4                               // 00000000A55C: 0AF8097C
	v_mul_f32_e32 v125, v125, v5                               // 00000000A560: 0AFA0B7D
	v_mul_f32_e32 v126, v126, v6                               // 00000000A564: 0AFC0D7E
	v_mul_f32_e32 v127, v127, v7                               // 00000000A568: 0AFE0F7F
	v_mul_f32_e32 v124, v124, v180                             // 00000000A56C: 0AF9697C
	v_mul_f32_e32 v125, v125, v181                             // 00000000A570: 0AFB6B7D
	v_mul_f32_e32 v126, v126, v182                             // 00000000A574: 0AFD6D7E
	v_mul_f32_e32 v127, v127, v183                             // 00000000A578: 0AFF6F7F

000000000000a57c <label_1EE2>:
	v_cmp_u_f32_e64 s[46:47], v72, v72                         // 00000000A57C: D048002E 00029148
	v_add3_u32 v16, v72, v19, 1                                // 00000000A584: D1FF0010 02062748
	v_cndmask_b32_e64 v4, v16, v18, s[46:47]                   // 00000000A58C: D1000004 00BA2510
	v_cmp_u_f32_e64 s[46:47], v73, v73                         // 00000000A594: D048002E 00029349
	v_add3_u32 v16, v73, v19, 1                                // 00000000A59C: D1FF0010 02062749
	v_cndmask_b32_e64 v5, v16, v18, s[46:47]                   // 00000000A5A4: D1000005 00BA2510
	v_perm_b32 v72, v5, v4, s52                                // 00000000A5AC: D1ED0048 00D20905
	v_cmp_u_f32_e64 s[46:47], v74, v74                         // 00000000A5B4: D048002E 0002954A
	v_add3_u32 v16, v74, v19, 1                                // 00000000A5BC: D1FF0010 0206274A
	v_cndmask_b32_e64 v4, v16, v18, s[46:47]                   // 00000000A5C4: D1000004 00BA2510
	v_cmp_u_f32_e64 s[46:47], v75, v75                         // 00000000A5CC: D048002E 0002974B
	v_add3_u32 v16, v75, v19, 1                                // 00000000A5D4: D1FF0010 0206274B
	v_cndmask_b32_e64 v5, v16, v18, s[46:47]                   // 00000000A5DC: D1000005 00BA2510
	v_perm_b32 v73, v5, v4, s52                                // 00000000A5E4: D1ED0049 00D20905
	v_cmp_u_f32_e64 s[46:47], v76, v76                         // 00000000A5EC: D048002E 0002994C
	v_add3_u32 v16, v76, v19, 1                                // 00000000A5F4: D1FF0010 0206274C
	v_cndmask_b32_e64 v4, v16, v18, s[46:47]                   // 00000000A5FC: D1000004 00BA2510
	v_cmp_u_f32_e64 s[46:47], v77, v77                         // 00000000A604: D048002E 00029B4D
	v_add3_u32 v16, v77, v19, 1                                // 00000000A60C: D1FF0010 0206274D
	v_cndmask_b32_e64 v5, v16, v18, s[46:47]                   // 00000000A614: D1000005 00BA2510
	v_perm_b32 v74, v5, v4, s52                                // 00000000A61C: D1ED004A 00D20905
	v_cmp_u_f32_e64 s[46:47], v78, v78                         // 00000000A624: D048002E 00029D4E
	v_add3_u32 v16, v78, v19, 1                                // 00000000A62C: D1FF0010 0206274E
	v_cndmask_b32_e64 v4, v16, v18, s[46:47]                   // 00000000A634: D1000004 00BA2510
	v_cmp_u_f32_e64 s[46:47], v79, v79                         // 00000000A63C: D048002E 00029F4F
	v_add3_u32 v16, v79, v19, 1                                // 00000000A644: D1FF0010 0206274F
	v_cndmask_b32_e64 v5, v16, v18, s[46:47]                   // 00000000A64C: D1000005 00BA2510
	v_perm_b32 v75, v5, v4, s52                                // 00000000A654: D1ED004B 00D20905
	v_cmp_u_f32_e64 s[46:47], v80, v80                         // 00000000A65C: D048002E 0002A150
	v_add3_u32 v16, v80, v19, 1                                // 00000000A664: D1FF0010 02062750
	v_cndmask_b32_e64 v4, v16, v18, s[46:47]                   // 00000000A66C: D1000004 00BA2510
	v_cmp_u_f32_e64 s[46:47], v81, v81                         // 00000000A674: D048002E 0002A351
	v_add3_u32 v16, v81, v19, 1                                // 00000000A67C: D1FF0010 02062751
	v_cndmask_b32_e64 v5, v16, v18, s[46:47]                   // 00000000A684: D1000005 00BA2510
	v_perm_b32 v76, v5, v4, s52                                // 00000000A68C: D1ED004C 00D20905
	v_cmp_u_f32_e64 s[46:47], v82, v82                         // 00000000A694: D048002E 0002A552
	v_add3_u32 v16, v82, v19, 1                                // 00000000A69C: D1FF0010 02062752
	v_cndmask_b32_e64 v4, v16, v18, s[46:47]                   // 00000000A6A4: D1000004 00BA2510
	v_cmp_u_f32_e64 s[46:47], v83, v83                         // 00000000A6AC: D048002E 0002A753
	v_add3_u32 v16, v83, v19, 1                                // 00000000A6B4: D1FF0010 02062753
	v_cndmask_b32_e64 v5, v16, v18, s[46:47]                   // 00000000A6BC: D1000005 00BA2510
	v_perm_b32 v77, v5, v4, s52                                // 00000000A6C4: D1ED004D 00D20905
	v_cmp_u_f32_e64 s[46:47], v84, v84                         // 00000000A6CC: D048002E 0002A954
	v_add3_u32 v16, v84, v19, 1                                // 00000000A6D4: D1FF0010 02062754
	v_cndmask_b32_e64 v4, v16, v18, s[46:47]                   // 00000000A6DC: D1000004 00BA2510
	v_cmp_u_f32_e64 s[46:47], v85, v85                         // 00000000A6E4: D048002E 0002AB55
	v_add3_u32 v16, v85, v19, 1                                // 00000000A6EC: D1FF0010 02062755
	v_cndmask_b32_e64 v5, v16, v18, s[46:47]                   // 00000000A6F4: D1000005 00BA2510
	v_perm_b32 v78, v5, v4, s52                                // 00000000A6FC: D1ED004E 00D20905
	v_cmp_u_f32_e64 s[46:47], v86, v86                         // 00000000A704: D048002E 0002AD56
	v_add3_u32 v16, v86, v19, 1                                // 00000000A70C: D1FF0010 02062756
	v_cndmask_b32_e64 v4, v16, v18, s[46:47]                   // 00000000A714: D1000004 00BA2510
	v_cmp_u_f32_e64 s[46:47], v87, v87                         // 00000000A71C: D048002E 0002AF57
	v_add3_u32 v16, v87, v19, 1                                // 00000000A724: D1FF0010 02062757
	v_cndmask_b32_e64 v5, v16, v18, s[46:47]                   // 00000000A72C: D1000005 00BA2510
	v_perm_b32 v79, v5, v4, s52                                // 00000000A734: D1ED004F 00D20905
	v_cmp_u_f32_e64 s[46:47], v88, v88                         // 00000000A73C: D048002E 0002B158
	v_add3_u32 v16, v88, v19, 1                                // 00000000A744: D1FF0010 02062758
	v_cndmask_b32_e64 v4, v16, v18, s[46:47]                   // 00000000A74C: D1000004 00BA2510
	v_cmp_u_f32_e64 s[46:47], v89, v89                         // 00000000A754: D048002E 0002B359
	v_add3_u32 v16, v89, v19, 1                                // 00000000A75C: D1FF0010 02062759
	v_cndmask_b32_e64 v5, v16, v18, s[46:47]                   // 00000000A764: D1000005 00BA2510
	v_perm_b32 v80, v5, v4, s52                                // 00000000A76C: D1ED0050 00D20905
	v_cmp_u_f32_e64 s[46:47], v90, v90                         // 00000000A774: D048002E 0002B55A
	v_add3_u32 v16, v90, v19, 1                                // 00000000A77C: D1FF0010 0206275A
	v_cndmask_b32_e64 v4, v16, v18, s[46:47]                   // 00000000A784: D1000004 00BA2510
	v_cmp_u_f32_e64 s[46:47], v91, v91                         // 00000000A78C: D048002E 0002B75B
	v_add3_u32 v16, v91, v19, 1                                // 00000000A794: D1FF0010 0206275B
	v_cndmask_b32_e64 v5, v16, v18, s[46:47]                   // 00000000A79C: D1000005 00BA2510
	v_perm_b32 v81, v5, v4, s52                                // 00000000A7A4: D1ED0051 00D20905
	v_cmp_u_f32_e64 s[46:47], v92, v92                         // 00000000A7AC: D048002E 0002B95C
	v_add3_u32 v16, v92, v19, 1                                // 00000000A7B4: D1FF0010 0206275C
	v_cndmask_b32_e64 v4, v16, v18, s[46:47]                   // 00000000A7BC: D1000004 00BA2510
	v_cmp_u_f32_e64 s[46:47], v93, v93                         // 00000000A7C4: D048002E 0002BB5D
	v_add3_u32 v16, v93, v19, 1                                // 00000000A7CC: D1FF0010 0206275D
	v_cndmask_b32_e64 v5, v16, v18, s[46:47]                   // 00000000A7D4: D1000005 00BA2510
	v_perm_b32 v82, v5, v4, s52                                // 00000000A7DC: D1ED0052 00D20905
	v_cmp_u_f32_e64 s[46:47], v94, v94                         // 00000000A7E4: D048002E 0002BD5E
	v_add3_u32 v16, v94, v19, 1                                // 00000000A7EC: D1FF0010 0206275E
	v_cndmask_b32_e64 v4, v16, v18, s[46:47]                   // 00000000A7F4: D1000004 00BA2510
	v_cmp_u_f32_e64 s[46:47], v95, v95                         // 00000000A7FC: D048002E 0002BF5F
	v_add3_u32 v16, v95, v19, 1                                // 00000000A804: D1FF0010 0206275F
	v_cndmask_b32_e64 v5, v16, v18, s[46:47]                   // 00000000A80C: D1000005 00BA2510
	v_perm_b32 v83, v5, v4, s52                                // 00000000A814: D1ED0053 00D20905
	v_cmp_u_f32_e64 s[46:47], v96, v96                         // 00000000A81C: D048002E 0002C160
	v_add3_u32 v16, v96, v19, 1                                // 00000000A824: D1FF0010 02062760
	v_cndmask_b32_e64 v4, v16, v18, s[46:47]                   // 00000000A82C: D1000004 00BA2510
	v_cmp_u_f32_e64 s[46:47], v97, v97                         // 00000000A834: D048002E 0002C361
	v_add3_u32 v16, v97, v19, 1                                // 00000000A83C: D1FF0010 02062761
	v_cndmask_b32_e64 v5, v16, v18, s[46:47]                   // 00000000A844: D1000005 00BA2510
	v_perm_b32 v84, v5, v4, s52                                // 00000000A84C: D1ED0054 00D20905
	v_cmp_u_f32_e64 s[46:47], v98, v98                         // 00000000A854: D048002E 0002C562
	v_add3_u32 v16, v98, v19, 1                                // 00000000A85C: D1FF0010 02062762
	v_cndmask_b32_e64 v4, v16, v18, s[46:47]                   // 00000000A864: D1000004 00BA2510
	v_cmp_u_f32_e64 s[46:47], v99, v99                         // 00000000A86C: D048002E 0002C763
	v_add3_u32 v16, v99, v19, 1                                // 00000000A874: D1FF0010 02062763
	v_cndmask_b32_e64 v5, v16, v18, s[46:47]                   // 00000000A87C: D1000005 00BA2510
	v_perm_b32 v85, v5, v4, s52                                // 00000000A884: D1ED0055 00D20905
	v_cmp_u_f32_e64 s[46:47], v100, v100                       // 00000000A88C: D048002E 0002C964
	v_add3_u32 v16, v100, v19, 1                               // 00000000A894: D1FF0010 02062764
	v_cndmask_b32_e64 v4, v16, v18, s[46:47]                   // 00000000A89C: D1000004 00BA2510
	v_cmp_u_f32_e64 s[46:47], v101, v101                       // 00000000A8A4: D048002E 0002CB65
	v_add3_u32 v16, v101, v19, 1                               // 00000000A8AC: D1FF0010 02062765
	v_cndmask_b32_e64 v5, v16, v18, s[46:47]                   // 00000000A8B4: D1000005 00BA2510
	v_perm_b32 v86, v5, v4, s52                                // 00000000A8BC: D1ED0056 00D20905
	v_cmp_u_f32_e64 s[46:47], v102, v102                       // 00000000A8C4: D048002E 0002CD66
	v_add3_u32 v16, v102, v19, 1                               // 00000000A8CC: D1FF0010 02062766
	v_cndmask_b32_e64 v4, v16, v18, s[46:47]                   // 00000000A8D4: D1000004 00BA2510
	v_cmp_u_f32_e64 s[46:47], v103, v103                       // 00000000A8DC: D048002E 0002CF67
	v_add3_u32 v16, v103, v19, 1                               // 00000000A8E4: D1FF0010 02062767
	v_cndmask_b32_e64 v5, v16, v18, s[46:47]                   // 00000000A8EC: D1000005 00BA2510
	v_perm_b32 v87, v5, v4, s52                                // 00000000A8F4: D1ED0057 00D20905
	v_cmp_u_f32_e64 s[46:47], v104, v104                       // 00000000A8FC: D048002E 0002D168
	v_add3_u32 v16, v104, v19, 1                               // 00000000A904: D1FF0010 02062768
	v_cndmask_b32_e64 v4, v16, v18, s[46:47]                   // 00000000A90C: D1000004 00BA2510
	v_cmp_u_f32_e64 s[46:47], v105, v105                       // 00000000A914: D048002E 0002D369
	v_add3_u32 v16, v105, v19, 1                               // 00000000A91C: D1FF0010 02062769
	v_cndmask_b32_e64 v5, v16, v18, s[46:47]                   // 00000000A924: D1000005 00BA2510
	v_perm_b32 v88, v5, v4, s52                                // 00000000A92C: D1ED0058 00D20905
	v_cmp_u_f32_e64 s[46:47], v106, v106                       // 00000000A934: D048002E 0002D56A
	v_add3_u32 v16, v106, v19, 1                               // 00000000A93C: D1FF0010 0206276A
	v_cndmask_b32_e64 v4, v16, v18, s[46:47]                   // 00000000A944: D1000004 00BA2510
	v_cmp_u_f32_e64 s[46:47], v107, v107                       // 00000000A94C: D048002E 0002D76B
	v_add3_u32 v16, v107, v19, 1                               // 00000000A954: D1FF0010 0206276B
	v_cndmask_b32_e64 v5, v16, v18, s[46:47]                   // 00000000A95C: D1000005 00BA2510
	v_perm_b32 v89, v5, v4, s52                                // 00000000A964: D1ED0059 00D20905
	v_cmp_u_f32_e64 s[46:47], v108, v108                       // 00000000A96C: D048002E 0002D96C
	v_add3_u32 v16, v108, v19, 1                               // 00000000A974: D1FF0010 0206276C
	v_cndmask_b32_e64 v4, v16, v18, s[46:47]                   // 00000000A97C: D1000004 00BA2510
	v_cmp_u_f32_e64 s[46:47], v109, v109                       // 00000000A984: D048002E 0002DB6D
	v_add3_u32 v16, v109, v19, 1                               // 00000000A98C: D1FF0010 0206276D
	v_cndmask_b32_e64 v5, v16, v18, s[46:47]                   // 00000000A994: D1000005 00BA2510
	v_perm_b32 v90, v5, v4, s52                                // 00000000A99C: D1ED005A 00D20905
	v_cmp_u_f32_e64 s[46:47], v110, v110                       // 00000000A9A4: D048002E 0002DD6E
	v_add3_u32 v16, v110, v19, 1                               // 00000000A9AC: D1FF0010 0206276E
	v_cndmask_b32_e64 v4, v16, v18, s[46:47]                   // 00000000A9B4: D1000004 00BA2510
	v_cmp_u_f32_e64 s[46:47], v111, v111                       // 00000000A9BC: D048002E 0002DF6F
	v_add3_u32 v16, v111, v19, 1                               // 00000000A9C4: D1FF0010 0206276F
	v_cndmask_b32_e64 v5, v16, v18, s[46:47]                   // 00000000A9CC: D1000005 00BA2510
	v_perm_b32 v91, v5, v4, s52                                // 00000000A9D4: D1ED005B 00D20905
	v_cmp_u_f32_e64 s[46:47], v112, v112                       // 00000000A9DC: D048002E 0002E170
	v_add3_u32 v16, v112, v19, 1                               // 00000000A9E4: D1FF0010 02062770
	v_cndmask_b32_e64 v4, v16, v18, s[46:47]                   // 00000000A9EC: D1000004 00BA2510
	v_cmp_u_f32_e64 s[46:47], v113, v113                       // 00000000A9F4: D048002E 0002E371
	v_add3_u32 v16, v113, v19, 1                               // 00000000A9FC: D1FF0010 02062771
	v_cndmask_b32_e64 v5, v16, v18, s[46:47]                   // 00000000AA04: D1000005 00BA2510
	v_perm_b32 v92, v5, v4, s52                                // 00000000AA0C: D1ED005C 00D20905
	v_cmp_u_f32_e64 s[46:47], v114, v114                       // 00000000AA14: D048002E 0002E572
	v_add3_u32 v16, v114, v19, 1                               // 00000000AA1C: D1FF0010 02062772
	v_cndmask_b32_e64 v4, v16, v18, s[46:47]                   // 00000000AA24: D1000004 00BA2510
	v_cmp_u_f32_e64 s[46:47], v115, v115                       // 00000000AA2C: D048002E 0002E773
	v_add3_u32 v16, v115, v19, 1                               // 00000000AA34: D1FF0010 02062773
	v_cndmask_b32_e64 v5, v16, v18, s[46:47]                   // 00000000AA3C: D1000005 00BA2510
	v_perm_b32 v93, v5, v4, s52                                // 00000000AA44: D1ED005D 00D20905
	v_cmp_u_f32_e64 s[46:47], v116, v116                       // 00000000AA4C: D048002E 0002E974
	v_add3_u32 v16, v116, v19, 1                               // 00000000AA54: D1FF0010 02062774
	v_cndmask_b32_e64 v4, v16, v18, s[46:47]                   // 00000000AA5C: D1000004 00BA2510
	v_cmp_u_f32_e64 s[46:47], v117, v117                       // 00000000AA64: D048002E 0002EB75
	v_add3_u32 v16, v117, v19, 1                               // 00000000AA6C: D1FF0010 02062775
	v_cndmask_b32_e64 v5, v16, v18, s[46:47]                   // 00000000AA74: D1000005 00BA2510
	v_perm_b32 v94, v5, v4, s52                                // 00000000AA7C: D1ED005E 00D20905
	v_cmp_u_f32_e64 s[46:47], v118, v118                       // 00000000AA84: D048002E 0002ED76
	v_add3_u32 v16, v118, v19, 1                               // 00000000AA8C: D1FF0010 02062776
	v_cndmask_b32_e64 v4, v16, v18, s[46:47]                   // 00000000AA94: D1000004 00BA2510
	v_cmp_u_f32_e64 s[46:47], v119, v119                       // 00000000AA9C: D048002E 0002EF77
	v_add3_u32 v16, v119, v19, 1                               // 00000000AAA4: D1FF0010 02062777
	v_cndmask_b32_e64 v5, v16, v18, s[46:47]                   // 00000000AAAC: D1000005 00BA2510
	v_perm_b32 v95, v5, v4, s52                                // 00000000AAB4: D1ED005F 00D20905
	v_cmp_u_f32_e64 s[46:47], v120, v120                       // 00000000AABC: D048002E 0002F178
	v_add3_u32 v16, v120, v19, 1                               // 00000000AAC4: D1FF0010 02062778
	v_cndmask_b32_e64 v4, v16, v18, s[46:47]                   // 00000000AACC: D1000004 00BA2510
	v_cmp_u_f32_e64 s[46:47], v121, v121                       // 00000000AAD4: D048002E 0002F379
	v_add3_u32 v16, v121, v19, 1                               // 00000000AADC: D1FF0010 02062779
	v_cndmask_b32_e64 v5, v16, v18, s[46:47]                   // 00000000AAE4: D1000005 00BA2510
	v_perm_b32 v96, v5, v4, s52                                // 00000000AAEC: D1ED0060 00D20905
	v_cmp_u_f32_e64 s[46:47], v122, v122                       // 00000000AAF4: D048002E 0002F57A
	v_add3_u32 v16, v122, v19, 1                               // 00000000AAFC: D1FF0010 0206277A
	v_cndmask_b32_e64 v4, v16, v18, s[46:47]                   // 00000000AB04: D1000004 00BA2510
	v_cmp_u_f32_e64 s[46:47], v123, v123                       // 00000000AB0C: D048002E 0002F77B
	v_add3_u32 v16, v123, v19, 1                               // 00000000AB14: D1FF0010 0206277B
	v_cndmask_b32_e64 v5, v16, v18, s[46:47]                   // 00000000AB1C: D1000005 00BA2510
	v_perm_b32 v97, v5, v4, s52                                // 00000000AB24: D1ED0061 00D20905
	v_cmp_u_f32_e64 s[46:47], v124, v124                       // 00000000AB2C: D048002E 0002F97C
	v_add3_u32 v16, v124, v19, 1                               // 00000000AB34: D1FF0010 0206277C
	v_cndmask_b32_e64 v4, v16, v18, s[46:47]                   // 00000000AB3C: D1000004 00BA2510
	v_cmp_u_f32_e64 s[46:47], v125, v125                       // 00000000AB44: D048002E 0002FB7D
	v_add3_u32 v16, v125, v19, 1                               // 00000000AB4C: D1FF0010 0206277D
	v_cndmask_b32_e64 v5, v16, v18, s[46:47]                   // 00000000AB54: D1000005 00BA2510
	v_perm_b32 v98, v5, v4, s52                                // 00000000AB5C: D1ED0062 00D20905
	v_cmp_u_f32_e64 s[46:47], v126, v126                       // 00000000AB64: D048002E 0002FD7E
	v_add3_u32 v16, v126, v19, 1                               // 00000000AB6C: D1FF0010 0206277E
	v_cndmask_b32_e64 v4, v16, v18, s[46:47]                   // 00000000AB74: D1000004 00BA2510
	v_cmp_u_f32_e64 s[46:47], v127, v127                       // 00000000AB7C: D048002E 0002FF7F
	v_add3_u32 v16, v127, v19, 1                               // 00000000AB84: D1FF0010 0206277F
	v_cndmask_b32_e64 v5, v16, v18, s[46:47]                   // 00000000AB8C: D1000005 00BA2510
	v_perm_b32 v99, v5, v4, s52                                // 00000000AB94: D1ED0063 00D20905
	ds_write_b64 v20, v[72:73]                                 // 00000000AB9C: D89A0000 00004814
	ds_write_b64 v20, v[74:75] offset:4352                     // 00000000ABA4: D89A1100 00004A14
	ds_write_b64 v20, v[76:77] offset:8704                     // 00000000ABAC: D89A2200 00004C14
	ds_write_b64 v20, v[78:79] offset:13056                    // 00000000ABB4: D89A3300 00004E14
	ds_write_b64 v20, v[80:81] offset:17408                    // 00000000ABBC: D89A4400 00005014
	ds_write_b64 v20, v[82:83] offset:21760                    // 00000000ABC4: D89A5500 00005214
	ds_write_b64 v20, v[84:85] offset:26112                    // 00000000ABCC: D89A6600 00005414
	ds_write_b64 v20, v[86:87] offset:2176                     // 00000000ABD4: D89A0880 00005614
	ds_write_b64 v20, v[88:89] offset:6528                     // 00000000ABDC: D89A1980 00005814
	ds_write_b64 v20, v[90:91] offset:10880                    // 00000000ABE4: D89A2A80 00005A14
	ds_write_b64 v20, v[92:93] offset:15232                    // 00000000ABEC: D89A3B80 00005C14
	ds_write_b64 v20, v[94:95] offset:19584                    // 00000000ABF4: D89A4C80 00005E14
	ds_write_b64 v20, v[96:97] offset:23936                    // 00000000ABFC: D89A5D80 00006014
	ds_write_b64 v20, v[98:99] offset:28288                    // 00000000AC04: D89A6E80 00006214
	v_lshrrev_b32_e32 v4, 5, v0                                // 00000000AC0C: 20080085
	v_xor_b32_e32 v5, 1, v4                                    // 00000000AC10: 2A0A0881
	s_mul_i32 s60, s65, 2                                      // 00000000AC14: 923C8241
	s_cmp_eq_u32 s88, 0                                        // 00000000AC18: BF068058
	s_cselect_b32 s61, 1, 4                                    // 00000000AC1C: 853D8481
	s_mul_i32 s60, s61, s60                                    // 00000000AC20: 923C3C3D
	v_readlane_b32 s82, v3, 0                                  // 00000000AC24: D2890052 00010103
	s_lshr_b32 s61, s82, 24                                    // 00000000AC2C: 8F3D9852
	s_and_b32 s82, s82, 0xffffff                               // 00000000AC30: 8652FF52 00FFFFFF
	s_mul_i32 s82, s82, s71                                    // 00000000AC38: 92524752
	s_mul_i32 s61, s60, s61                                    // 00000000AC3C: 923D3D3C
	s_add_u32 s82, s82, s61                                    // 00000000AC40: 80523D52
	v_mul_lo_u32 v6, v5, s82                                   // 00000000AC44: D2850006 0000A505
	v_readlane_b32 s82, v3, 1                                  // 00000000AC4C: D2890052 00010303
	s_lshr_b32 s61, s82, 24                                    // 00000000AC54: 8F3D9852
	s_and_b32 s82, s82, 0xffffff                               // 00000000AC58: 8652FF52 00FFFFFF
	s_mul_i32 s82, s82, s71                                    // 00000000AC60: 92524752
	s_mul_i32 s61, s60, s61                                    // 00000000AC64: 923D3D3C
	s_add_u32 s82, s82, s61                                    // 00000000AC68: 80523D52
	v_mul_lo_u32 v7, v4, s82                                   // 00000000AC6C: D2850007 0000A504
	v_add_u32_e32 v56, v6, v7                                  // 00000000AC74: 68700F06
	v_readlane_b32 s82, v3, 2                                  // 00000000AC78: D2890052 00010503
	s_lshr_b32 s61, s82, 24                                    // 00000000AC80: 8F3D9852
	s_and_b32 s82, s82, 0xffffff                               // 00000000AC84: 8652FF52 00FFFFFF
	s_mul_i32 s82, s82, s71                                    // 00000000AC8C: 92524752
	s_mul_i32 s61, s60, s61                                    // 00000000AC90: 923D3D3C
	s_add_u32 s82, s82, s61                                    // 00000000AC94: 80523D52
	v_mul_lo_u32 v6, v5, s82                                   // 00000000AC98: D2850006 0000A505
	v_readlane_b32 s82, v3, 3                                  // 00000000ACA0: D2890052 00010703
	s_lshr_b32 s61, s82, 24                                    // 00000000ACA8: 8F3D9852
	s_and_b32 s82, s82, 0xffffff                               // 00000000ACAC: 8652FF52 00FFFFFF
	s_mul_i32 s82, s82, s71                                    // 00000000ACB4: 92524752
	s_mul_i32 s61, s60, s61                                    // 00000000ACB8: 923D3D3C
	s_add_u32 s82, s82, s61                                    // 00000000ACBC: 80523D52
	v_mul_lo_u32 v7, v4, s82                                   // 00000000ACC0: D2850007 0000A504
	v_add_u32_e32 v57, v6, v7                                  // 00000000ACC8: 68720F06
	v_readlane_b32 s82, v3, 4                                  // 00000000ACCC: D2890052 00010903
	s_lshr_b32 s61, s82, 24                                    // 00000000ACD4: 8F3D9852
	s_and_b32 s82, s82, 0xffffff                               // 00000000ACD8: 8652FF52 00FFFFFF
	s_mul_i32 s82, s82, s71                                    // 00000000ACE0: 92524752
	s_mul_i32 s61, s60, s61                                    // 00000000ACE4: 923D3D3C
	s_add_u32 s82, s82, s61                                    // 00000000ACE8: 80523D52
	v_mul_lo_u32 v6, v5, s82                                   // 00000000ACEC: D2850006 0000A505
	v_readlane_b32 s82, v3, 5                                  // 00000000ACF4: D2890052 00010B03
	s_lshr_b32 s61, s82, 24                                    // 00000000ACFC: 8F3D9852
	s_and_b32 s82, s82, 0xffffff                               // 00000000AD00: 8652FF52 00FFFFFF
	s_mul_i32 s82, s82, s71                                    // 00000000AD08: 92524752
	s_mul_i32 s61, s60, s61                                    // 00000000AD0C: 923D3D3C
	s_add_u32 s82, s82, s61                                    // 00000000AD10: 80523D52
	v_mul_lo_u32 v7, v4, s82                                   // 00000000AD14: D2850007 0000A504
	v_add_u32_e32 v58, v6, v7                                  // 00000000AD1C: 68740F06
	v_readlane_b32 s82, v3, 6                                  // 00000000AD20: D2890052 00010D03
	s_lshr_b32 s61, s82, 24                                    // 00000000AD28: 8F3D9852
	s_and_b32 s82, s82, 0xffffff                               // 00000000AD2C: 8652FF52 00FFFFFF
	s_mul_i32 s82, s82, s71                                    // 00000000AD34: 92524752
	s_mul_i32 s61, s60, s61                                    // 00000000AD38: 923D3D3C
	s_add_u32 s82, s82, s61                                    // 00000000AD3C: 80523D52
	v_mul_lo_u32 v6, v5, s82                                   // 00000000AD40: D2850006 0000A505
	v_readlane_b32 s82, v3, 7                                  // 00000000AD48: D2890052 00010F03
	s_lshr_b32 s61, s82, 24                                    // 00000000AD50: 8F3D9852
	s_and_b32 s82, s82, 0xffffff                               // 00000000AD54: 8652FF52 00FFFFFF
	s_mul_i32 s82, s82, s71                                    // 00000000AD5C: 92524752
	s_mul_i32 s61, s60, s61                                    // 00000000AD60: 923D3D3C
	s_add_u32 s82, s82, s61                                    // 00000000AD64: 80523D52
	v_mul_lo_u32 v7, v4, s82                                   // 00000000AD68: D2850007 0000A504
	v_add_u32_e32 v59, v6, v7                                  // 00000000AD70: 68760F06
	v_readlane_b32 s82, v3, 8                                  // 00000000AD74: D2890052 00011103
	s_lshr_b32 s61, s82, 24                                    // 00000000AD7C: 8F3D9852
	s_and_b32 s82, s82, 0xffffff                               // 00000000AD80: 8652FF52 00FFFFFF
	s_mul_i32 s82, s82, s71                                    // 00000000AD88: 92524752
	s_mul_i32 s61, s60, s61                                    // 00000000AD8C: 923D3D3C
	s_add_u32 s82, s82, s61                                    // 00000000AD90: 80523D52
	v_mul_lo_u32 v6, v5, s82                                   // 00000000AD94: D2850006 0000A505
	v_readlane_b32 s82, v3, 9                                  // 00000000AD9C: D2890052 00011303
	s_lshr_b32 s61, s82, 24                                    // 00000000ADA4: 8F3D9852
	s_and_b32 s82, s82, 0xffffff                               // 00000000ADA8: 8652FF52 00FFFFFF
	s_mul_i32 s82, s82, s71                                    // 00000000ADB0: 92524752
	s_mul_i32 s61, s60, s61                                    // 00000000ADB4: 923D3D3C
	s_add_u32 s82, s82, s61                                    // 00000000ADB8: 80523D52
	v_mul_lo_u32 v7, v4, s82                                   // 00000000ADBC: D2850007 0000A504
	v_add_u32_e32 v60, v6, v7                                  // 00000000ADC4: 68780F06
	v_readlane_b32 s82, v3, 10                                 // 00000000ADC8: D2890052 00011503
	s_lshr_b32 s61, s82, 24                                    // 00000000ADD0: 8F3D9852
	s_and_b32 s82, s82, 0xffffff                               // 00000000ADD4: 8652FF52 00FFFFFF
	s_mul_i32 s82, s82, s71                                    // 00000000ADDC: 92524752
	s_mul_i32 s61, s60, s61                                    // 00000000ADE0: 923D3D3C
	s_add_u32 s82, s82, s61                                    // 00000000ADE4: 80523D52
	v_mul_lo_u32 v6, v5, s82                                   // 00000000ADE8: D2850006 0000A505
	v_readlane_b32 s82, v3, 11                                 // 00000000ADF0: D2890052 00011703
	s_lshr_b32 s61, s82, 24                                    // 00000000ADF8: 8F3D9852
	s_and_b32 s82, s82, 0xffffff                               // 00000000ADFC: 8652FF52 00FFFFFF
	s_mul_i32 s82, s82, s71                                    // 00000000AE04: 92524752
	s_mul_i32 s61, s60, s61                                    // 00000000AE08: 923D3D3C
	s_add_u32 s82, s82, s61                                    // 00000000AE0C: 80523D52
	v_mul_lo_u32 v7, v4, s82                                   // 00000000AE10: D2850007 0000A504
	v_add_u32_e32 v61, v6, v7                                  // 00000000AE18: 687A0F06
	v_readlane_b32 s82, v3, 12                                 // 00000000AE1C: D2890052 00011903
	s_lshr_b32 s61, s82, 24                                    // 00000000AE24: 8F3D9852
	s_and_b32 s82, s82, 0xffffff                               // 00000000AE28: 8652FF52 00FFFFFF
	s_mul_i32 s82, s82, s71                                    // 00000000AE30: 92524752
	s_mul_i32 s61, s60, s61                                    // 00000000AE34: 923D3D3C
	s_add_u32 s82, s82, s61                                    // 00000000AE38: 80523D52
	v_mul_lo_u32 v6, v5, s82                                   // 00000000AE3C: D2850006 0000A505
	v_readlane_b32 s82, v3, 13                                 // 00000000AE44: D2890052 00011B03
	s_lshr_b32 s61, s82, 24                                    // 00000000AE4C: 8F3D9852
	s_and_b32 s82, s82, 0xffffff                               // 00000000AE50: 8652FF52 00FFFFFF
	s_mul_i32 s82, s82, s71                                    // 00000000AE58: 92524752
	s_mul_i32 s61, s60, s61                                    // 00000000AE5C: 923D3D3C
	s_add_u32 s82, s82, s61                                    // 00000000AE60: 80523D52
	v_mul_lo_u32 v7, v4, s82                                   // 00000000AE64: D2850007 0000A504
	v_add_u32_e32 v62, v6, v7                                  // 00000000AE6C: 687C0F06
	v_readlane_b32 s82, v3, 14                                 // 00000000AE70: D2890052 00011D03
	s_lshr_b32 s61, s82, 24                                    // 00000000AE78: 8F3D9852
	s_and_b32 s82, s82, 0xffffff                               // 00000000AE7C: 8652FF52 00FFFFFF
	s_mul_i32 s82, s82, s71                                    // 00000000AE84: 92524752
	s_mul_i32 s61, s60, s61                                    // 00000000AE88: 923D3D3C
	s_add_u32 s82, s82, s61                                    // 00000000AE8C: 80523D52
	v_mul_lo_u32 v6, v5, s82                                   // 00000000AE90: D2850006 0000A505
	v_readlane_b32 s82, v3, 15                                 // 00000000AE98: D2890052 00011F03
	s_lshr_b32 s61, s82, 24                                    // 00000000AEA0: 8F3D9852
	s_and_b32 s82, s82, 0xffffff                               // 00000000AEA4: 8652FF52 00FFFFFF
	s_mul_i32 s82, s82, s71                                    // 00000000AEAC: 92524752
	s_mul_i32 s61, s60, s61                                    // 00000000AEB0: 923D3D3C
	s_add_u32 s82, s82, s61                                    // 00000000AEB4: 80523D52
	v_mul_lo_u32 v7, v4, s82                                   // 00000000AEB8: D2850007 0000A504
	v_add_u32_e32 v63, v6, v7                                  // 00000000AEC0: 687E0F06
	v_readlane_b32 s82, v3, 16                                 // 00000000AEC4: D2890052 00012103
	s_lshr_b32 s61, s82, 24                                    // 00000000AECC: 8F3D9852
	s_and_b32 s82, s82, 0xffffff                               // 00000000AED0: 8652FF52 00FFFFFF
	s_mul_i32 s82, s82, s71                                    // 00000000AED8: 92524752
	s_mul_i32 s61, s60, s61                                    // 00000000AEDC: 923D3D3C
	s_add_u32 s82, s82, s61                                    // 00000000AEE0: 80523D52
	v_mul_lo_u32 v6, v5, s82                                   // 00000000AEE4: D2850006 0000A505
	v_readlane_b32 s82, v3, 17                                 // 00000000AEEC: D2890052 00012303
	s_lshr_b32 s61, s82, 24                                    // 00000000AEF4: 8F3D9852
	s_and_b32 s82, s82, 0xffffff                               // 00000000AEF8: 8652FF52 00FFFFFF
	s_mul_i32 s82, s82, s71                                    // 00000000AF00: 92524752
	s_mul_i32 s61, s60, s61                                    // 00000000AF04: 923D3D3C
	s_add_u32 s82, s82, s61                                    // 00000000AF08: 80523D52
	v_mul_lo_u32 v7, v4, s82                                   // 00000000AF0C: D2850007 0000A504
	v_add_u32_e32 v64, v6, v7                                  // 00000000AF14: 68800F06
	v_readlane_b32 s82, v3, 18                                 // 00000000AF18: D2890052 00012503
	s_lshr_b32 s61, s82, 24                                    // 00000000AF20: 8F3D9852
	s_and_b32 s82, s82, 0xffffff                               // 00000000AF24: 8652FF52 00FFFFFF
	s_mul_i32 s82, s82, s71                                    // 00000000AF2C: 92524752
	s_mul_i32 s61, s60, s61                                    // 00000000AF30: 923D3D3C
	s_add_u32 s82, s82, s61                                    // 00000000AF34: 80523D52
	v_mul_lo_u32 v6, v5, s82                                   // 00000000AF38: D2850006 0000A505
	v_readlane_b32 s82, v3, 19                                 // 00000000AF40: D2890052 00012703
	s_lshr_b32 s61, s82, 24                                    // 00000000AF48: 8F3D9852
	s_and_b32 s82, s82, 0xffffff                               // 00000000AF4C: 8652FF52 00FFFFFF
	s_mul_i32 s82, s82, s71                                    // 00000000AF54: 92524752
	s_mul_i32 s61, s60, s61                                    // 00000000AF58: 923D3D3C
	s_add_u32 s82, s82, s61                                    // 00000000AF5C: 80523D52
	v_mul_lo_u32 v7, v4, s82                                   // 00000000AF60: D2850007 0000A504
	v_add_u32_e32 v65, v6, v7                                  // 00000000AF68: 68820F06
	v_readlane_b32 s82, v3, 20                                 // 00000000AF6C: D2890052 00012903
	s_lshr_b32 s61, s82, 24                                    // 00000000AF74: 8F3D9852
	s_and_b32 s82, s82, 0xffffff                               // 00000000AF78: 8652FF52 00FFFFFF
	s_mul_i32 s82, s82, s71                                    // 00000000AF80: 92524752
	s_mul_i32 s61, s60, s61                                    // 00000000AF84: 923D3D3C
	s_add_u32 s82, s82, s61                                    // 00000000AF88: 80523D52
	v_mul_lo_u32 v6, v5, s82                                   // 00000000AF8C: D2850006 0000A505
	v_readlane_b32 s82, v3, 21                                 // 00000000AF94: D2890052 00012B03
	s_lshr_b32 s61, s82, 24                                    // 00000000AF9C: 8F3D9852
	s_and_b32 s82, s82, 0xffffff                               // 00000000AFA0: 8652FF52 00FFFFFF
	s_mul_i32 s82, s82, s71                                    // 00000000AFA8: 92524752
	s_mul_i32 s61, s60, s61                                    // 00000000AFAC: 923D3D3C
	s_add_u32 s82, s82, s61                                    // 00000000AFB0: 80523D52
	v_mul_lo_u32 v7, v4, s82                                   // 00000000AFB4: D2850007 0000A504
	v_add_u32_e32 v66, v6, v7                                  // 00000000AFBC: 68840F06
	v_readlane_b32 s82, v3, 22                                 // 00000000AFC0: D2890052 00012D03
	s_lshr_b32 s61, s82, 24                                    // 00000000AFC8: 8F3D9852
	s_and_b32 s82, s82, 0xffffff                               // 00000000AFCC: 8652FF52 00FFFFFF
	s_mul_i32 s82, s82, s71                                    // 00000000AFD4: 92524752
	s_mul_i32 s61, s60, s61                                    // 00000000AFD8: 923D3D3C
	s_add_u32 s82, s82, s61                                    // 00000000AFDC: 80523D52
	v_mul_lo_u32 v6, v5, s82                                   // 00000000AFE0: D2850006 0000A505
	v_readlane_b32 s82, v3, 23                                 // 00000000AFE8: D2890052 00012F03
	s_lshr_b32 s61, s82, 24                                    // 00000000AFF0: 8F3D9852
	s_and_b32 s82, s82, 0xffffff                               // 00000000AFF4: 8652FF52 00FFFFFF
	s_mul_i32 s82, s82, s71                                    // 00000000AFFC: 92524752
	s_mul_i32 s61, s60, s61                                    // 00000000B000: 923D3D3C
	s_add_u32 s82, s82, s61                                    // 00000000B004: 80523D52
	v_mul_lo_u32 v7, v4, s82                                   // 00000000B008: D2850007 0000A504
	v_add_u32_e32 v67, v6, v7                                  // 00000000B010: 68860F06
	v_readlane_b32 s82, v3, 24                                 // 00000000B014: D2890052 00013103
	s_lshr_b32 s61, s82, 24                                    // 00000000B01C: 8F3D9852
	s_and_b32 s82, s82, 0xffffff                               // 00000000B020: 8652FF52 00FFFFFF
	s_mul_i32 s82, s82, s71                                    // 00000000B028: 92524752
	s_mul_i32 s61, s60, s61                                    // 00000000B02C: 923D3D3C
	s_add_u32 s82, s82, s61                                    // 00000000B030: 80523D52
	v_mul_lo_u32 v6, v5, s82                                   // 00000000B034: D2850006 0000A505
	v_readlane_b32 s82, v3, 25                                 // 00000000B03C: D2890052 00013303
	s_lshr_b32 s61, s82, 24                                    // 00000000B044: 8F3D9852
	s_and_b32 s82, s82, 0xffffff                               // 00000000B048: 8652FF52 00FFFFFF
	s_mul_i32 s82, s82, s71                                    // 00000000B050: 92524752
	s_mul_i32 s61, s60, s61                                    // 00000000B054: 923D3D3C
	s_add_u32 s82, s82, s61                                    // 00000000B058: 80523D52
	v_mul_lo_u32 v7, v4, s82                                   // 00000000B05C: D2850007 0000A504
	v_add_u32_e32 v68, v6, v7                                  // 00000000B064: 68880F06
	v_readlane_b32 s82, v3, 26                                 // 00000000B068: D2890052 00013503
	s_lshr_b32 s61, s82, 24                                    // 00000000B070: 8F3D9852
	s_and_b32 s82, s82, 0xffffff                               // 00000000B074: 8652FF52 00FFFFFF
	s_mul_i32 s82, s82, s71                                    // 00000000B07C: 92524752
	s_mul_i32 s61, s60, s61                                    // 00000000B080: 923D3D3C
	s_add_u32 s82, s82, s61                                    // 00000000B084: 80523D52
	v_mul_lo_u32 v6, v5, s82                                   // 00000000B088: D2850006 0000A505
	v_readlane_b32 s82, v3, 27                                 // 00000000B090: D2890052 00013703
	s_lshr_b32 s61, s82, 24                                    // 00000000B098: 8F3D9852
	s_and_b32 s82, s82, 0xffffff                               // 00000000B09C: 8652FF52 00FFFFFF
	s_mul_i32 s82, s82, s71                                    // 00000000B0A4: 92524752
	s_mul_i32 s61, s60, s61                                    // 00000000B0A8: 923D3D3C
	s_add_u32 s82, s82, s61                                    // 00000000B0AC: 80523D52
	v_mul_lo_u32 v7, v4, s82                                   // 00000000B0B0: D2850007 0000A504
	v_add_u32_e32 v69, v6, v7                                  // 00000000B0B8: 688A0F06
	v_and_b32_e32 v4, 31, v0                                   // 00000000B0BC: 2608009F
	v_lshrrev_b32_e32 v4, 1, v4                                // 00000000B0C0: 20080881
	s_cmp_eq_u32 s88, 0                                        // 00000000B0C4: BF068058
	s_cselect_b32 s61, 2, 4                                    // 00000000B0C8: 853D8482
	v_mul_lo_u32 v4, v4, s61                                   // 00000000B0CC: D2850004 00007B04
	v_and_b32_e64 v5, v0, 1                                    // 00000000B0D4: D1130005 00010300
	v_add_u32_e32 v4, v4, v5                                   // 00000000B0DC: 68080B04
	v_lshlrev_b32_e32 v4, 2, v4                                // 00000000B0E0: 24080882
	v_add_u32_e32 v56, v56, v4                                 // 00000000B0E4: 68700938
	v_add_u32_e32 v57, v57, v4                                 // 00000000B0E8: 68720939
	v_add_u32_e32 v58, v58, v4                                 // 00000000B0EC: 6874093A
	v_add_u32_e32 v59, v59, v4                                 // 00000000B0F0: 6876093B
	v_add_u32_e32 v60, v60, v4                                 // 00000000B0F4: 6878093C
	v_add_u32_e32 v61, v61, v4                                 // 00000000B0F8: 687A093D
	v_add_u32_e32 v62, v62, v4                                 // 00000000B0FC: 687C093E
	v_add_u32_e32 v63, v63, v4                                 // 00000000B100: 687E093F
	v_add_u32_e32 v64, v64, v4                                 // 00000000B104: 68800940
	v_add_u32_e32 v65, v65, v4                                 // 00000000B108: 68820941
	v_add_u32_e32 v66, v66, v4                                 // 00000000B10C: 68840942
	v_add_u32_e32 v67, v67, v4                                 // 00000000B110: 68860943
	v_add_u32_e32 v68, v68, v4                                 // 00000000B114: 68880944
	v_add_u32_e32 v69, v69, v4                                 // 00000000B118: 688A0945
	s_waitcnt lgkmcnt(0)                                       // 00000000B11C: BF8CC07F
	s_barrier                                                  // 00000000B120: BF8A0000
	ds_read_b32 v72, v21                                       // 00000000B124: D86C0000 48000015
	ds_read_b32 v73, v21 offset:64                             // 00000000B12C: D86C0040 49000015
	ds_read_b32 v74, v21 offset:2176                           // 00000000B134: D86C0880 4A000015
	ds_read_b32 v75, v21 offset:2240                           // 00000000B13C: D86C08C0 4B000015
	ds_read_b32 v76, v21 offset:4352                           // 00000000B144: D86C1100 4C000015
	ds_read_b32 v77, v21 offset:4416                           // 00000000B14C: D86C1140 4D000015
	ds_read_b32 v78, v21 offset:6528                           // 00000000B154: D86C1980 4E000015
	ds_read_b32 v79, v21 offset:6592                           // 00000000B15C: D86C19C0 4F000015
	ds_read_b32 v80, v21 offset:8704                           // 00000000B164: D86C2200 50000015
	ds_read_b32 v81, v21 offset:8768                           // 00000000B16C: D86C2240 51000015
	ds_read_b32 v82, v21 offset:10880                          // 00000000B174: D86C2A80 52000015
	ds_read_b32 v83, v21 offset:10944                          // 00000000B17C: D86C2AC0 53000015
	ds_read_b32 v84, v21 offset:13056                          // 00000000B184: D86C3300 54000015
	ds_read_b32 v85, v21 offset:13120                          // 00000000B18C: D86C3340 55000015
	ds_read_b32 v86, v21 offset:15232                          // 00000000B194: D86C3B80 56000015
	ds_read_b32 v87, v21 offset:15296                          // 00000000B19C: D86C3BC0 57000015
	ds_read_b32 v88, v21 offset:17408                          // 00000000B1A4: D86C4400 58000015
	ds_read_b32 v89, v21 offset:17472                          // 00000000B1AC: D86C4440 59000015
	ds_read_b32 v90, v21 offset:19584                          // 00000000B1B4: D86C4C80 5A000015
	ds_read_b32 v91, v21 offset:19648                          // 00000000B1BC: D86C4CC0 5B000015
	ds_read_b32 v92, v21 offset:21760                          // 00000000B1C4: D86C5500 5C000015
	ds_read_b32 v93, v21 offset:21824                          // 00000000B1CC: D86C5540 5D000015
	ds_read_b32 v94, v21 offset:23936                          // 00000000B1D4: D86C5D80 5E000015
	ds_read_b32 v95, v21 offset:24000                          // 00000000B1DC: D86C5DC0 5F000015
	ds_read_b32 v96, v21 offset:26112                          // 00000000B1E4: D86C6600 60000015
	ds_read_b32 v97, v21 offset:26176                          // 00000000B1EC: D86C6640 61000015
	ds_read_b32 v98, v21 offset:28288                          // 00000000B1F4: D86C6E80 62000015
	ds_read_b32 v99, v21 offset:28352                          // 00000000B1FC: D86C6EC0 63000015
	s_waitcnt lgkmcnt(0)                                       // 00000000B204: BF8CC07F
	s_mov_b32 s36, -1                                          // 00000000B208: BEA400C1
	s_mov_b32 s37, -1                                          // 00000000B20C: BEA500C1
	v_mov_b32_e32 v7, 0                                        // 00000000B210: 7E0E0280
	s_or_b32 s9, s9, 0x40000                                   // 00000000B214: 8709FF09 00040000
	s_mov_b64 exec, s[36:37]                                   // 00000000B21C: BEFE0124
	v_mov_b32_e32 v6, v56                                      // 00000000B220: 7E0C0338
	s_mov_b64 s[60:61], 0                                      // 00000000B224: BEBC0180
	v_readlane_b32 s82, v3, 0                                  // 00000000B228: D2890052 00010103
	s_and_b32 s82, s82, 0xffffff                               // 00000000B230: 8652FF52 00FFFFFF
	s_cmp_lt_u32 s82, s66                                      // 00000000B238: BF0A4252
	s_cselect_b32 s20, s36, s60                                // 00000000B23C: 85143C24
	v_readlane_b32 s82, v3, 1                                  // 00000000B240: D2890052 00010303
	s_and_b32 s82, s82, 0xffffff                               // 00000000B248: 8652FF52 00FFFFFF
	s_cmp_lt_u32 s82, s66                                      // 00000000B250: BF0A4252
	s_cselect_b32 s21, s36, s60                                // 00000000B254: 85153C24
	s_mov_b64 exec, s[20:21]                                   // 00000000B258: BEFE0114
	buffer_store_dword v72, v6, s[8:11], 0 offen               // 00000000B25C: E0701000 80024806
	buffer_store_dword v74, v6, s[8:11], 0 offen offset:128    // 00000000B264: E0701080 80024A06
	s_mov_b64 exec, s[36:37]                                   // 00000000B26C: BEFE0124
	v_mov_b32_e32 v6, v57                                      // 00000000B270: 7E0C0339
	s_mov_b64 s[60:61], 0                                      // 00000000B274: BEBC0180
	v_readlane_b32 s82, v3, 2                                  // 00000000B278: D2890052 00010503
	s_and_b32 s82, s82, 0xffffff                               // 00000000B280: 8652FF52 00FFFFFF
	s_cmp_lt_u32 s82, s66                                      // 00000000B288: BF0A4252
	s_cselect_b32 s20, s36, s60                                // 00000000B28C: 85143C24
	v_readlane_b32 s82, v3, 3                                  // 00000000B290: D2890052 00010703
	s_and_b32 s82, s82, 0xffffff                               // 00000000B298: 8652FF52 00FFFFFF
	s_cmp_lt_u32 s82, s66                                      // 00000000B2A0: BF0A4252
	s_cselect_b32 s21, s36, s60                                // 00000000B2A4: 85153C24
	s_mov_b64 exec, s[20:21]                                   // 00000000B2A8: BEFE0114
	buffer_store_dword v73, v6, s[8:11], 0 offen               // 00000000B2AC: E0701000 80024906
	buffer_store_dword v75, v6, s[8:11], 0 offen offset:128    // 00000000B2B4: E0701080 80024B06
	s_mov_b64 exec, s[36:37]                                   // 00000000B2BC: BEFE0124
	v_mov_b32_e32 v6, v58                                      // 00000000B2C0: 7E0C033A
	s_mov_b64 s[60:61], 0                                      // 00000000B2C4: BEBC0180
	v_readlane_b32 s82, v3, 4                                  // 00000000B2C8: D2890052 00010903
	s_and_b32 s82, s82, 0xffffff                               // 00000000B2D0: 8652FF52 00FFFFFF
	s_cmp_lt_u32 s82, s66                                      // 00000000B2D8: BF0A4252
	s_cselect_b32 s20, s36, s60                                // 00000000B2DC: 85143C24
	v_readlane_b32 s82, v3, 5                                  // 00000000B2E0: D2890052 00010B03
	s_and_b32 s82, s82, 0xffffff                               // 00000000B2E8: 8652FF52 00FFFFFF
	s_cmp_lt_u32 s82, s66                                      // 00000000B2F0: BF0A4252
	s_cselect_b32 s21, s36, s60                                // 00000000B2F4: 85153C24
	s_mov_b64 exec, s[20:21]                                   // 00000000B2F8: BEFE0114
	buffer_store_dword v76, v6, s[8:11], 0 offen               // 00000000B2FC: E0701000 80024C06
	buffer_store_dword v78, v6, s[8:11], 0 offen offset:128    // 00000000B304: E0701080 80024E06
	s_mov_b64 exec, s[36:37]                                   // 00000000B30C: BEFE0124
	v_mov_b32_e32 v6, v59                                      // 00000000B310: 7E0C033B
	s_mov_b64 s[60:61], 0                                      // 00000000B314: BEBC0180
	v_readlane_b32 s82, v3, 6                                  // 00000000B318: D2890052 00010D03
	s_and_b32 s82, s82, 0xffffff                               // 00000000B320: 8652FF52 00FFFFFF
	s_cmp_lt_u32 s82, s66                                      // 00000000B328: BF0A4252
	s_cselect_b32 s20, s36, s60                                // 00000000B32C: 85143C24
	v_readlane_b32 s82, v3, 7                                  // 00000000B330: D2890052 00010F03
	s_and_b32 s82, s82, 0xffffff                               // 00000000B338: 8652FF52 00FFFFFF
	s_cmp_lt_u32 s82, s66                                      // 00000000B340: BF0A4252
	s_cselect_b32 s21, s36, s60                                // 00000000B344: 85153C24
	s_mov_b64 exec, s[20:21]                                   // 00000000B348: BEFE0114
	buffer_store_dword v77, v6, s[8:11], 0 offen               // 00000000B34C: E0701000 80024D06
	buffer_store_dword v79, v6, s[8:11], 0 offen offset:128    // 00000000B354: E0701080 80024F06
	s_mov_b64 exec, s[36:37]                                   // 00000000B35C: BEFE0124
	v_mov_b32_e32 v6, v60                                      // 00000000B360: 7E0C033C
	s_mov_b64 s[60:61], 0                                      // 00000000B364: BEBC0180
	v_readlane_b32 s82, v3, 8                                  // 00000000B368: D2890052 00011103
	s_and_b32 s82, s82, 0xffffff                               // 00000000B370: 8652FF52 00FFFFFF
	s_cmp_lt_u32 s82, s66                                      // 00000000B378: BF0A4252
	s_cselect_b32 s20, s36, s60                                // 00000000B37C: 85143C24
	v_readlane_b32 s82, v3, 9                                  // 00000000B380: D2890052 00011303
	s_and_b32 s82, s82, 0xffffff                               // 00000000B388: 8652FF52 00FFFFFF
	s_cmp_lt_u32 s82, s66                                      // 00000000B390: BF0A4252
	s_cselect_b32 s21, s36, s60                                // 00000000B394: 85153C24
	s_mov_b64 exec, s[20:21]                                   // 00000000B398: BEFE0114
	buffer_store_dword v80, v6, s[8:11], 0 offen               // 00000000B39C: E0701000 80025006
	buffer_store_dword v82, v6, s[8:11], 0 offen offset:128    // 00000000B3A4: E0701080 80025206
	s_mov_b64 exec, s[36:37]                                   // 00000000B3AC: BEFE0124
	v_mov_b32_e32 v6, v61                                      // 00000000B3B0: 7E0C033D
	s_mov_b64 s[60:61], 0                                      // 00000000B3B4: BEBC0180
	v_readlane_b32 s82, v3, 10                                 // 00000000B3B8: D2890052 00011503
	s_and_b32 s82, s82, 0xffffff                               // 00000000B3C0: 8652FF52 00FFFFFF
	s_cmp_lt_u32 s82, s66                                      // 00000000B3C8: BF0A4252
	s_cselect_b32 s20, s36, s60                                // 00000000B3CC: 85143C24
	v_readlane_b32 s82, v3, 11                                 // 00000000B3D0: D2890052 00011703
	s_and_b32 s82, s82, 0xffffff                               // 00000000B3D8: 8652FF52 00FFFFFF
	s_cmp_lt_u32 s82, s66                                      // 00000000B3E0: BF0A4252
	s_cselect_b32 s21, s36, s60                                // 00000000B3E4: 85153C24
	s_mov_b64 exec, s[20:21]                                   // 00000000B3E8: BEFE0114
	buffer_store_dword v81, v6, s[8:11], 0 offen               // 00000000B3EC: E0701000 80025106
	buffer_store_dword v83, v6, s[8:11], 0 offen offset:128    // 00000000B3F4: E0701080 80025306
	s_mov_b64 exec, s[36:37]                                   // 00000000B3FC: BEFE0124
	v_mov_b32_e32 v6, v62                                      // 00000000B400: 7E0C033E
	s_mov_b64 s[60:61], 0                                      // 00000000B404: BEBC0180
	v_readlane_b32 s82, v3, 12                                 // 00000000B408: D2890052 00011903
	s_and_b32 s82, s82, 0xffffff                               // 00000000B410: 8652FF52 00FFFFFF
	s_cmp_lt_u32 s82, s66                                      // 00000000B418: BF0A4252
	s_cselect_b32 s20, s36, s60                                // 00000000B41C: 85143C24
	v_readlane_b32 s82, v3, 13                                 // 00000000B420: D2890052 00011B03
	s_and_b32 s82, s82, 0xffffff                               // 00000000B428: 8652FF52 00FFFFFF
	s_cmp_lt_u32 s82, s66                                      // 00000000B430: BF0A4252
	s_cselect_b32 s21, s36, s60                                // 00000000B434: 85153C24
	s_mov_b64 exec, s[20:21]                                   // 00000000B438: BEFE0114
	buffer_store_dword v84, v6, s[8:11], 0 offen               // 00000000B43C: E0701000 80025406
	buffer_store_dword v86, v6, s[8:11], 0 offen offset:128    // 00000000B444: E0701080 80025606
	s_mov_b64 exec, s[36:37]                                   // 00000000B44C: BEFE0124
	v_mov_b32_e32 v6, v63                                      // 00000000B450: 7E0C033F
	s_mov_b64 s[60:61], 0                                      // 00000000B454: BEBC0180
	v_readlane_b32 s82, v3, 14                                 // 00000000B458: D2890052 00011D03
	s_and_b32 s82, s82, 0xffffff                               // 00000000B460: 8652FF52 00FFFFFF
	s_cmp_lt_u32 s82, s66                                      // 00000000B468: BF0A4252
	s_cselect_b32 s20, s36, s60                                // 00000000B46C: 85143C24
	v_readlane_b32 s82, v3, 15                                 // 00000000B470: D2890052 00011F03
	s_and_b32 s82, s82, 0xffffff                               // 00000000B478: 8652FF52 00FFFFFF
	s_cmp_lt_u32 s82, s66                                      // 00000000B480: BF0A4252
	s_cselect_b32 s21, s36, s60                                // 00000000B484: 85153C24
	s_mov_b64 exec, s[20:21]                                   // 00000000B488: BEFE0114
	buffer_store_dword v85, v6, s[8:11], 0 offen               // 00000000B48C: E0701000 80025506
	buffer_store_dword v87, v6, s[8:11], 0 offen offset:128    // 00000000B494: E0701080 80025706
	s_mov_b64 exec, s[36:37]                                   // 00000000B49C: BEFE0124
	v_mov_b32_e32 v6, v64                                      // 00000000B4A0: 7E0C0340
	s_mov_b64 s[60:61], 0                                      // 00000000B4A4: BEBC0180
	v_readlane_b32 s82, v3, 16                                 // 00000000B4A8: D2890052 00012103
	s_and_b32 s82, s82, 0xffffff                               // 00000000B4B0: 8652FF52 00FFFFFF
	s_cmp_lt_u32 s82, s66                                      // 00000000B4B8: BF0A4252
	s_cselect_b32 s20, s36, s60                                // 00000000B4BC: 85143C24
	v_readlane_b32 s82, v3, 17                                 // 00000000B4C0: D2890052 00012303
	s_and_b32 s82, s82, 0xffffff                               // 00000000B4C8: 8652FF52 00FFFFFF
	s_cmp_lt_u32 s82, s66                                      // 00000000B4D0: BF0A4252
	s_cselect_b32 s21, s36, s60                                // 00000000B4D4: 85153C24
	s_mov_b64 exec, s[20:21]                                   // 00000000B4D8: BEFE0114
	buffer_store_dword v88, v6, s[8:11], 0 offen               // 00000000B4DC: E0701000 80025806
	buffer_store_dword v90, v6, s[8:11], 0 offen offset:128    // 00000000B4E4: E0701080 80025A06
	s_mov_b64 exec, s[36:37]                                   // 00000000B4EC: BEFE0124
	v_mov_b32_e32 v6, v65                                      // 00000000B4F0: 7E0C0341
	s_mov_b64 s[60:61], 0                                      // 00000000B4F4: BEBC0180
	v_readlane_b32 s82, v3, 18                                 // 00000000B4F8: D2890052 00012503
	s_and_b32 s82, s82, 0xffffff                               // 00000000B500: 8652FF52 00FFFFFF
	s_cmp_lt_u32 s82, s66                                      // 00000000B508: BF0A4252
	s_cselect_b32 s20, s36, s60                                // 00000000B50C: 85143C24
	v_readlane_b32 s82, v3, 19                                 // 00000000B510: D2890052 00012703
	s_and_b32 s82, s82, 0xffffff                               // 00000000B518: 8652FF52 00FFFFFF
	s_cmp_lt_u32 s82, s66                                      // 00000000B520: BF0A4252
	s_cselect_b32 s21, s36, s60                                // 00000000B524: 85153C24
	s_mov_b64 exec, s[20:21]                                   // 00000000B528: BEFE0114
	buffer_store_dword v89, v6, s[8:11], 0 offen               // 00000000B52C: E0701000 80025906
	buffer_store_dword v91, v6, s[8:11], 0 offen offset:128    // 00000000B534: E0701080 80025B06
	s_mov_b64 exec, s[36:37]                                   // 00000000B53C: BEFE0124
	v_mov_b32_e32 v6, v66                                      // 00000000B540: 7E0C0342
	s_mov_b64 s[60:61], 0                                      // 00000000B544: BEBC0180
	v_readlane_b32 s82, v3, 20                                 // 00000000B548: D2890052 00012903
	s_and_b32 s82, s82, 0xffffff                               // 00000000B550: 8652FF52 00FFFFFF
	s_cmp_lt_u32 s82, s66                                      // 00000000B558: BF0A4252
	s_cselect_b32 s20, s36, s60                                // 00000000B55C: 85143C24
	v_readlane_b32 s82, v3, 21                                 // 00000000B560: D2890052 00012B03
	s_and_b32 s82, s82, 0xffffff                               // 00000000B568: 8652FF52 00FFFFFF
	s_cmp_lt_u32 s82, s66                                      // 00000000B570: BF0A4252
	s_cselect_b32 s21, s36, s60                                // 00000000B574: 85153C24
	s_mov_b64 exec, s[20:21]                                   // 00000000B578: BEFE0114
	buffer_store_dword v92, v6, s[8:11], 0 offen               // 00000000B57C: E0701000 80025C06
	buffer_store_dword v94, v6, s[8:11], 0 offen offset:128    // 00000000B584: E0701080 80025E06
	s_mov_b64 exec, s[36:37]                                   // 00000000B58C: BEFE0124
	v_mov_b32_e32 v6, v67                                      // 00000000B590: 7E0C0343
	s_mov_b64 s[60:61], 0                                      // 00000000B594: BEBC0180
	v_readlane_b32 s82, v3, 22                                 // 00000000B598: D2890052 00012D03
	s_and_b32 s82, s82, 0xffffff                               // 00000000B5A0: 8652FF52 00FFFFFF
	s_cmp_lt_u32 s82, s66                                      // 00000000B5A8: BF0A4252
	s_cselect_b32 s20, s36, s60                                // 00000000B5AC: 85143C24
	v_readlane_b32 s82, v3, 23                                 // 00000000B5B0: D2890052 00012F03
	s_and_b32 s82, s82, 0xffffff                               // 00000000B5B8: 8652FF52 00FFFFFF
	s_cmp_lt_u32 s82, s66                                      // 00000000B5C0: BF0A4252
	s_cselect_b32 s21, s36, s60                                // 00000000B5C4: 85153C24
	s_mov_b64 exec, s[20:21]                                   // 00000000B5C8: BEFE0114
	buffer_store_dword v93, v6, s[8:11], 0 offen               // 00000000B5CC: E0701000 80025D06
	buffer_store_dword v95, v6, s[8:11], 0 offen offset:128    // 00000000B5D4: E0701080 80025F06
	s_mov_b64 exec, s[36:37]                                   // 00000000B5DC: BEFE0124
	v_mov_b32_e32 v6, v68                                      // 00000000B5E0: 7E0C0344
	s_mov_b64 s[60:61], 0                                      // 00000000B5E4: BEBC0180
	v_readlane_b32 s82, v3, 24                                 // 00000000B5E8: D2890052 00013103
	s_and_b32 s82, s82, 0xffffff                               // 00000000B5F0: 8652FF52 00FFFFFF
	s_cmp_lt_u32 s82, s66                                      // 00000000B5F8: BF0A4252
	s_cselect_b32 s20, s36, s60                                // 00000000B5FC: 85143C24
	v_readlane_b32 s82, v3, 25                                 // 00000000B600: D2890052 00013303
	s_and_b32 s82, s82, 0xffffff                               // 00000000B608: 8652FF52 00FFFFFF
	s_cmp_lt_u32 s82, s66                                      // 00000000B610: BF0A4252
	s_cselect_b32 s21, s36, s60                                // 00000000B614: 85153C24
	s_mov_b64 exec, s[20:21]                                   // 00000000B618: BEFE0114
	buffer_store_dword v96, v6, s[8:11], 0 offen               // 00000000B61C: E0701000 80026006
	buffer_store_dword v98, v6, s[8:11], 0 offen offset:128    // 00000000B624: E0701080 80026206
	s_mov_b64 exec, s[36:37]                                   // 00000000B62C: BEFE0124
	v_mov_b32_e32 v6, v69                                      // 00000000B630: 7E0C0345
	s_mov_b64 s[60:61], 0                                      // 00000000B634: BEBC0180
	v_readlane_b32 s82, v3, 26                                 // 00000000B638: D2890052 00013503
	s_and_b32 s82, s82, 0xffffff                               // 00000000B640: 8652FF52 00FFFFFF
	s_cmp_lt_u32 s82, s66                                      // 00000000B648: BF0A4252
	s_cselect_b32 s20, s36, s60                                // 00000000B64C: 85143C24
	v_readlane_b32 s82, v3, 27                                 // 00000000B650: D2890052 00013703
	s_and_b32 s82, s82, 0xffffff                               // 00000000B658: 8652FF52 00FFFFFF
	s_cmp_lt_u32 s82, s66                                      // 00000000B660: BF0A4252
	s_cselect_b32 s21, s36, s60                                // 00000000B664: 85153C24
	s_mov_b64 exec, s[20:21]                                   // 00000000B668: BEFE0114
	buffer_store_dword v97, v6, s[8:11], 0 offen               // 00000000B66C: E0701000 80026106
	buffer_store_dword v99, v6, s[8:11], 0 offen offset:128    // 00000000B674: E0701080 80026306
	s_mov_b64 exec, s[36:37]                                   // 00000000B67C: BEFE0124
	s_branch label_2A32                                        // 00000000B680: BF82070E

000000000000b684 <label_2324>:
	ds_write_b64 v20, v[72:73]                                 // 00000000B684: D89A0000 00004814
	ds_write_b64 v20, v[76:77] offset:4352                     // 00000000B68C: D89A1100 00004C14
	ds_write_b64 v20, v[80:81] offset:8704                     // 00000000B694: D89A2200 00005014
	ds_write_b64 v20, v[84:85] offset:13056                    // 00000000B69C: D89A3300 00005414
	ds_write_b64 v20, v[88:89] offset:17408                    // 00000000B6A4: D89A4400 00005814
	ds_write_b64 v20, v[92:93] offset:21760                    // 00000000B6AC: D89A5500 00005C14
	ds_write_b64 v20, v[96:97] offset:26112                    // 00000000B6B4: D89A6600 00006014
	ds_write_b64 v20, v[100:101] offset:2176                   // 00000000B6BC: D89A0880 00006414
	ds_write_b64 v20, v[104:105] offset:6528                   // 00000000B6C4: D89A1980 00006814
	ds_write_b64 v20, v[108:109] offset:10880                  // 00000000B6CC: D89A2A80 00006C14
	ds_write_b64 v20, v[112:113] offset:15232                  // 00000000B6D4: D89A3B80 00007014
	ds_write_b64 v20, v[116:117] offset:19584                  // 00000000B6DC: D89A4C80 00007414
	ds_write_b64 v20, v[120:121] offset:23936                  // 00000000B6E4: D89A5D80 00007814
	ds_write_b64 v20, v[124:125] offset:28288                  // 00000000B6EC: D89A6E80 00007C14
	v_lshrrev_b32_e32 v4, 5, v0                                // 00000000B6F4: 20080085
	v_xor_b32_e32 v5, 1, v4                                    // 00000000B6F8: 2A0A0881
	s_mul_i32 s60, s65, 2                                      // 00000000B6FC: 923C8241
	s_cmp_eq_u32 s88, 0                                        // 00000000B700: BF068058
	s_cselect_b32 s61, 1, 4                                    // 00000000B704: 853D8481
	s_mul_i32 s60, s61, s60                                    // 00000000B708: 923C3C3D
	v_readlane_b32 s82, v3, 0                                  // 00000000B70C: D2890052 00010103
	s_lshr_b32 s61, s82, 24                                    // 00000000B714: 8F3D9852
	s_and_b32 s82, s82, 0xffffff                               // 00000000B718: 8652FF52 00FFFFFF
	s_mul_i32 s82, s82, s71                                    // 00000000B720: 92524752
	s_mul_i32 s61, s60, s61                                    // 00000000B724: 923D3D3C
	s_add_u32 s82, s82, s61                                    // 00000000B728: 80523D52
	v_mul_lo_u32 v6, v5, s82                                   // 00000000B72C: D2850006 0000A505
	v_readlane_b32 s82, v3, 1                                  // 00000000B734: D2890052 00010303
	s_lshr_b32 s61, s82, 24                                    // 00000000B73C: 8F3D9852
	s_and_b32 s82, s82, 0xffffff                               // 00000000B740: 8652FF52 00FFFFFF
	s_mul_i32 s82, s82, s71                                    // 00000000B748: 92524752
	s_mul_i32 s61, s60, s61                                    // 00000000B74C: 923D3D3C
	s_add_u32 s82, s82, s61                                    // 00000000B750: 80523D52
	v_mul_lo_u32 v7, v4, s82                                   // 00000000B754: D2850007 0000A504
	v_add_u32_e32 v56, v6, v7                                  // 00000000B75C: 68700F06
	v_readlane_b32 s82, v3, 2                                  // 00000000B760: D2890052 00010503
	s_lshr_b32 s61, s82, 24                                    // 00000000B768: 8F3D9852
	s_and_b32 s82, s82, 0xffffff                               // 00000000B76C: 8652FF52 00FFFFFF
	s_mul_i32 s82, s82, s71                                    // 00000000B774: 92524752
	s_mul_i32 s61, s60, s61                                    // 00000000B778: 923D3D3C
	s_add_u32 s82, s82, s61                                    // 00000000B77C: 80523D52
	v_mul_lo_u32 v6, v5, s82                                   // 00000000B780: D2850006 0000A505
	v_readlane_b32 s82, v3, 3                                  // 00000000B788: D2890052 00010703
	s_lshr_b32 s61, s82, 24                                    // 00000000B790: 8F3D9852
	s_and_b32 s82, s82, 0xffffff                               // 00000000B794: 8652FF52 00FFFFFF
	s_mul_i32 s82, s82, s71                                    // 00000000B79C: 92524752
	s_mul_i32 s61, s60, s61                                    // 00000000B7A0: 923D3D3C
	s_add_u32 s82, s82, s61                                    // 00000000B7A4: 80523D52
	v_mul_lo_u32 v7, v4, s82                                   // 00000000B7A8: D2850007 0000A504
	v_add_u32_e32 v57, v6, v7                                  // 00000000B7B0: 68720F06
	v_readlane_b32 s82, v3, 4                                  // 00000000B7B4: D2890052 00010903
	s_lshr_b32 s61, s82, 24                                    // 00000000B7BC: 8F3D9852
	s_and_b32 s82, s82, 0xffffff                               // 00000000B7C0: 8652FF52 00FFFFFF
	s_mul_i32 s82, s82, s71                                    // 00000000B7C8: 92524752
	s_mul_i32 s61, s60, s61                                    // 00000000B7CC: 923D3D3C
	s_add_u32 s82, s82, s61                                    // 00000000B7D0: 80523D52
	v_mul_lo_u32 v6, v5, s82                                   // 00000000B7D4: D2850006 0000A505
	v_readlane_b32 s82, v3, 5                                  // 00000000B7DC: D2890052 00010B03
	s_lshr_b32 s61, s82, 24                                    // 00000000B7E4: 8F3D9852
	s_and_b32 s82, s82, 0xffffff                               // 00000000B7E8: 8652FF52 00FFFFFF
	s_mul_i32 s82, s82, s71                                    // 00000000B7F0: 92524752
	s_mul_i32 s61, s60, s61                                    // 00000000B7F4: 923D3D3C
	s_add_u32 s82, s82, s61                                    // 00000000B7F8: 80523D52
	v_mul_lo_u32 v7, v4, s82                                   // 00000000B7FC: D2850007 0000A504
	v_add_u32_e32 v58, v6, v7                                  // 00000000B804: 68740F06
	v_readlane_b32 s82, v3, 6                                  // 00000000B808: D2890052 00010D03
	s_lshr_b32 s61, s82, 24                                    // 00000000B810: 8F3D9852
	s_and_b32 s82, s82, 0xffffff                               // 00000000B814: 8652FF52 00FFFFFF
	s_mul_i32 s82, s82, s71                                    // 00000000B81C: 92524752
	s_mul_i32 s61, s60, s61                                    // 00000000B820: 923D3D3C
	s_add_u32 s82, s82, s61                                    // 00000000B824: 80523D52
	v_mul_lo_u32 v6, v5, s82                                   // 00000000B828: D2850006 0000A505
	v_readlane_b32 s82, v3, 7                                  // 00000000B830: D2890052 00010F03
	s_lshr_b32 s61, s82, 24                                    // 00000000B838: 8F3D9852
	s_and_b32 s82, s82, 0xffffff                               // 00000000B83C: 8652FF52 00FFFFFF
	s_mul_i32 s82, s82, s71                                    // 00000000B844: 92524752
	s_mul_i32 s61, s60, s61                                    // 00000000B848: 923D3D3C
	s_add_u32 s82, s82, s61                                    // 00000000B84C: 80523D52
	v_mul_lo_u32 v7, v4, s82                                   // 00000000B850: D2850007 0000A504
	v_add_u32_e32 v59, v6, v7                                  // 00000000B858: 68760F06
	v_readlane_b32 s82, v3, 8                                  // 00000000B85C: D2890052 00011103
	s_lshr_b32 s61, s82, 24                                    // 00000000B864: 8F3D9852
	s_and_b32 s82, s82, 0xffffff                               // 00000000B868: 8652FF52 00FFFFFF
	s_mul_i32 s82, s82, s71                                    // 00000000B870: 92524752
	s_mul_i32 s61, s60, s61                                    // 00000000B874: 923D3D3C
	s_add_u32 s82, s82, s61                                    // 00000000B878: 80523D52
	v_mul_lo_u32 v6, v5, s82                                   // 00000000B87C: D2850006 0000A505
	v_readlane_b32 s82, v3, 9                                  // 00000000B884: D2890052 00011303
	s_lshr_b32 s61, s82, 24                                    // 00000000B88C: 8F3D9852
	s_and_b32 s82, s82, 0xffffff                               // 00000000B890: 8652FF52 00FFFFFF
	s_mul_i32 s82, s82, s71                                    // 00000000B898: 92524752
	s_mul_i32 s61, s60, s61                                    // 00000000B89C: 923D3D3C
	s_add_u32 s82, s82, s61                                    // 00000000B8A0: 80523D52
	v_mul_lo_u32 v7, v4, s82                                   // 00000000B8A4: D2850007 0000A504
	v_add_u32_e32 v60, v6, v7                                  // 00000000B8AC: 68780F06
	v_readlane_b32 s82, v3, 10                                 // 00000000B8B0: D2890052 00011503
	s_lshr_b32 s61, s82, 24                                    // 00000000B8B8: 8F3D9852
	s_and_b32 s82, s82, 0xffffff                               // 00000000B8BC: 8652FF52 00FFFFFF
	s_mul_i32 s82, s82, s71                                    // 00000000B8C4: 92524752
	s_mul_i32 s61, s60, s61                                    // 00000000B8C8: 923D3D3C
	s_add_u32 s82, s82, s61                                    // 00000000B8CC: 80523D52
	v_mul_lo_u32 v6, v5, s82                                   // 00000000B8D0: D2850006 0000A505
	v_readlane_b32 s82, v3, 11                                 // 00000000B8D8: D2890052 00011703
	s_lshr_b32 s61, s82, 24                                    // 00000000B8E0: 8F3D9852
	s_and_b32 s82, s82, 0xffffff                               // 00000000B8E4: 8652FF52 00FFFFFF
	s_mul_i32 s82, s82, s71                                    // 00000000B8EC: 92524752
	s_mul_i32 s61, s60, s61                                    // 00000000B8F0: 923D3D3C
	s_add_u32 s82, s82, s61                                    // 00000000B8F4: 80523D52
	v_mul_lo_u32 v7, v4, s82                                   // 00000000B8F8: D2850007 0000A504
	v_add_u32_e32 v61, v6, v7                                  // 00000000B900: 687A0F06
	v_readlane_b32 s82, v3, 12                                 // 00000000B904: D2890052 00011903
	s_lshr_b32 s61, s82, 24                                    // 00000000B90C: 8F3D9852
	s_and_b32 s82, s82, 0xffffff                               // 00000000B910: 8652FF52 00FFFFFF
	s_mul_i32 s82, s82, s71                                    // 00000000B918: 92524752
	s_mul_i32 s61, s60, s61                                    // 00000000B91C: 923D3D3C
	s_add_u32 s82, s82, s61                                    // 00000000B920: 80523D52
	v_mul_lo_u32 v6, v5, s82                                   // 00000000B924: D2850006 0000A505
	v_readlane_b32 s82, v3, 13                                 // 00000000B92C: D2890052 00011B03
	s_lshr_b32 s61, s82, 24                                    // 00000000B934: 8F3D9852
	s_and_b32 s82, s82, 0xffffff                               // 00000000B938: 8652FF52 00FFFFFF
	s_mul_i32 s82, s82, s71                                    // 00000000B940: 92524752
	s_mul_i32 s61, s60, s61                                    // 00000000B944: 923D3D3C
	s_add_u32 s82, s82, s61                                    // 00000000B948: 80523D52
	v_mul_lo_u32 v7, v4, s82                                   // 00000000B94C: D2850007 0000A504
	v_add_u32_e32 v62, v6, v7                                  // 00000000B954: 687C0F06
	v_readlane_b32 s82, v3, 14                                 // 00000000B958: D2890052 00011D03
	s_lshr_b32 s61, s82, 24                                    // 00000000B960: 8F3D9852
	s_and_b32 s82, s82, 0xffffff                               // 00000000B964: 8652FF52 00FFFFFF
	s_mul_i32 s82, s82, s71                                    // 00000000B96C: 92524752
	s_mul_i32 s61, s60, s61                                    // 00000000B970: 923D3D3C
	s_add_u32 s82, s82, s61                                    // 00000000B974: 80523D52
	v_mul_lo_u32 v6, v5, s82                                   // 00000000B978: D2850006 0000A505
	v_readlane_b32 s82, v3, 15                                 // 00000000B980: D2890052 00011F03
	s_lshr_b32 s61, s82, 24                                    // 00000000B988: 8F3D9852
	s_and_b32 s82, s82, 0xffffff                               // 00000000B98C: 8652FF52 00FFFFFF
	s_mul_i32 s82, s82, s71                                    // 00000000B994: 92524752
	s_mul_i32 s61, s60, s61                                    // 00000000B998: 923D3D3C
	s_add_u32 s82, s82, s61                                    // 00000000B99C: 80523D52
	v_mul_lo_u32 v7, v4, s82                                   // 00000000B9A0: D2850007 0000A504
	v_add_u32_e32 v63, v6, v7                                  // 00000000B9A8: 687E0F06
	v_readlane_b32 s82, v3, 16                                 // 00000000B9AC: D2890052 00012103
	s_lshr_b32 s61, s82, 24                                    // 00000000B9B4: 8F3D9852
	s_and_b32 s82, s82, 0xffffff                               // 00000000B9B8: 8652FF52 00FFFFFF
	s_mul_i32 s82, s82, s71                                    // 00000000B9C0: 92524752
	s_mul_i32 s61, s60, s61                                    // 00000000B9C4: 923D3D3C
	s_add_u32 s82, s82, s61                                    // 00000000B9C8: 80523D52
	v_mul_lo_u32 v6, v5, s82                                   // 00000000B9CC: D2850006 0000A505
	v_readlane_b32 s82, v3, 17                                 // 00000000B9D4: D2890052 00012303
	s_lshr_b32 s61, s82, 24                                    // 00000000B9DC: 8F3D9852
	s_and_b32 s82, s82, 0xffffff                               // 00000000B9E0: 8652FF52 00FFFFFF
	s_mul_i32 s82, s82, s71                                    // 00000000B9E8: 92524752
	s_mul_i32 s61, s60, s61                                    // 00000000B9EC: 923D3D3C
	s_add_u32 s82, s82, s61                                    // 00000000B9F0: 80523D52
	v_mul_lo_u32 v7, v4, s82                                   // 00000000B9F4: D2850007 0000A504
	v_add_u32_e32 v64, v6, v7                                  // 00000000B9FC: 68800F06
	v_readlane_b32 s82, v3, 18                                 // 00000000BA00: D2890052 00012503
	s_lshr_b32 s61, s82, 24                                    // 00000000BA08: 8F3D9852
	s_and_b32 s82, s82, 0xffffff                               // 00000000BA0C: 8652FF52 00FFFFFF
	s_mul_i32 s82, s82, s71                                    // 00000000BA14: 92524752
	s_mul_i32 s61, s60, s61                                    // 00000000BA18: 923D3D3C
	s_add_u32 s82, s82, s61                                    // 00000000BA1C: 80523D52
	v_mul_lo_u32 v6, v5, s82                                   // 00000000BA20: D2850006 0000A505
	v_readlane_b32 s82, v3, 19                                 // 00000000BA28: D2890052 00012703
	s_lshr_b32 s61, s82, 24                                    // 00000000BA30: 8F3D9852
	s_and_b32 s82, s82, 0xffffff                               // 00000000BA34: 8652FF52 00FFFFFF
	s_mul_i32 s82, s82, s71                                    // 00000000BA3C: 92524752
	s_mul_i32 s61, s60, s61                                    // 00000000BA40: 923D3D3C
	s_add_u32 s82, s82, s61                                    // 00000000BA44: 80523D52
	v_mul_lo_u32 v7, v4, s82                                   // 00000000BA48: D2850007 0000A504
	v_add_u32_e32 v65, v6, v7                                  // 00000000BA50: 68820F06
	v_readlane_b32 s82, v3, 20                                 // 00000000BA54: D2890052 00012903
	s_lshr_b32 s61, s82, 24                                    // 00000000BA5C: 8F3D9852
	s_and_b32 s82, s82, 0xffffff                               // 00000000BA60: 8652FF52 00FFFFFF
	s_mul_i32 s82, s82, s71                                    // 00000000BA68: 92524752
	s_mul_i32 s61, s60, s61                                    // 00000000BA6C: 923D3D3C
	s_add_u32 s82, s82, s61                                    // 00000000BA70: 80523D52
	v_mul_lo_u32 v6, v5, s82                                   // 00000000BA74: D2850006 0000A505
	v_readlane_b32 s82, v3, 21                                 // 00000000BA7C: D2890052 00012B03
	s_lshr_b32 s61, s82, 24                                    // 00000000BA84: 8F3D9852
	s_and_b32 s82, s82, 0xffffff                               // 00000000BA88: 8652FF52 00FFFFFF
	s_mul_i32 s82, s82, s71                                    // 00000000BA90: 92524752
	s_mul_i32 s61, s60, s61                                    // 00000000BA94: 923D3D3C
	s_add_u32 s82, s82, s61                                    // 00000000BA98: 80523D52
	v_mul_lo_u32 v7, v4, s82                                   // 00000000BA9C: D2850007 0000A504
	v_add_u32_e32 v66, v6, v7                                  // 00000000BAA4: 68840F06
	v_readlane_b32 s82, v3, 22                                 // 00000000BAA8: D2890052 00012D03
	s_lshr_b32 s61, s82, 24                                    // 00000000BAB0: 8F3D9852
	s_and_b32 s82, s82, 0xffffff                               // 00000000BAB4: 8652FF52 00FFFFFF
	s_mul_i32 s82, s82, s71                                    // 00000000BABC: 92524752
	s_mul_i32 s61, s60, s61                                    // 00000000BAC0: 923D3D3C
	s_add_u32 s82, s82, s61                                    // 00000000BAC4: 80523D52
	v_mul_lo_u32 v6, v5, s82                                   // 00000000BAC8: D2850006 0000A505
	v_readlane_b32 s82, v3, 23                                 // 00000000BAD0: D2890052 00012F03
	s_lshr_b32 s61, s82, 24                                    // 00000000BAD8: 8F3D9852
	s_and_b32 s82, s82, 0xffffff                               // 00000000BADC: 8652FF52 00FFFFFF
	s_mul_i32 s82, s82, s71                                    // 00000000BAE4: 92524752
	s_mul_i32 s61, s60, s61                                    // 00000000BAE8: 923D3D3C
	s_add_u32 s82, s82, s61                                    // 00000000BAEC: 80523D52
	v_mul_lo_u32 v7, v4, s82                                   // 00000000BAF0: D2850007 0000A504
	v_add_u32_e32 v67, v6, v7                                  // 00000000BAF8: 68860F06
	v_readlane_b32 s82, v3, 24                                 // 00000000BAFC: D2890052 00013103
	s_lshr_b32 s61, s82, 24                                    // 00000000BB04: 8F3D9852
	s_and_b32 s82, s82, 0xffffff                               // 00000000BB08: 8652FF52 00FFFFFF
	s_mul_i32 s82, s82, s71                                    // 00000000BB10: 92524752
	s_mul_i32 s61, s60, s61                                    // 00000000BB14: 923D3D3C
	s_add_u32 s82, s82, s61                                    // 00000000BB18: 80523D52
	v_mul_lo_u32 v6, v5, s82                                   // 00000000BB1C: D2850006 0000A505
	v_readlane_b32 s82, v3, 25                                 // 00000000BB24: D2890052 00013303
	s_lshr_b32 s61, s82, 24                                    // 00000000BB2C: 8F3D9852
	s_and_b32 s82, s82, 0xffffff                               // 00000000BB30: 8652FF52 00FFFFFF
	s_mul_i32 s82, s82, s71                                    // 00000000BB38: 92524752
	s_mul_i32 s61, s60, s61                                    // 00000000BB3C: 923D3D3C
	s_add_u32 s82, s82, s61                                    // 00000000BB40: 80523D52
	v_mul_lo_u32 v7, v4, s82                                   // 00000000BB44: D2850007 0000A504
	v_add_u32_e32 v68, v6, v7                                  // 00000000BB4C: 68880F06
	v_readlane_b32 s82, v3, 26                                 // 00000000BB50: D2890052 00013503
	s_lshr_b32 s61, s82, 24                                    // 00000000BB58: 8F3D9852
	s_and_b32 s82, s82, 0xffffff                               // 00000000BB5C: 8652FF52 00FFFFFF
	s_mul_i32 s82, s82, s71                                    // 00000000BB64: 92524752
	s_mul_i32 s61, s60, s61                                    // 00000000BB68: 923D3D3C
	s_add_u32 s82, s82, s61                                    // 00000000BB6C: 80523D52
	v_mul_lo_u32 v6, v5, s82                                   // 00000000BB70: D2850006 0000A505
	v_readlane_b32 s82, v3, 27                                 // 00000000BB78: D2890052 00013703
	s_lshr_b32 s61, s82, 24                                    // 00000000BB80: 8F3D9852
	s_and_b32 s82, s82, 0xffffff                               // 00000000BB84: 8652FF52 00FFFFFF
	s_mul_i32 s82, s82, s71                                    // 00000000BB8C: 92524752
	s_mul_i32 s61, s60, s61                                    // 00000000BB90: 923D3D3C
	s_add_u32 s82, s82, s61                                    // 00000000BB94: 80523D52
	v_mul_lo_u32 v7, v4, s82                                   // 00000000BB98: D2850007 0000A504
	v_add_u32_e32 v69, v6, v7                                  // 00000000BBA0: 688A0F06
	v_and_b32_e32 v4, 31, v0                                   // 00000000BBA4: 2608009F
	v_lshrrev_b32_e32 v4, 1, v4                                // 00000000BBA8: 20080881
	s_cmp_eq_u32 s88, 0                                        // 00000000BBAC: BF068058
	s_cselect_b32 s61, 2, 4                                    // 00000000BBB0: 853D8482
	v_mul_lo_u32 v4, v4, s61                                   // 00000000BBB4: D2850004 00007B04
	v_and_b32_e64 v5, v0, 1                                    // 00000000BBBC: D1130005 00010300
	v_add_u32_e32 v4, v4, v5                                   // 00000000BBC4: 68080B04
	v_lshlrev_b32_e32 v4, 2, v4                                // 00000000BBC8: 24080882
	v_add_u32_e32 v56, v56, v4                                 // 00000000BBCC: 68700938
	v_add_u32_e32 v57, v57, v4                                 // 00000000BBD0: 68720939
	v_add_u32_e32 v58, v58, v4                                 // 00000000BBD4: 6874093A
	v_add_u32_e32 v59, v59, v4                                 // 00000000BBD8: 6876093B
	v_add_u32_e32 v60, v60, v4                                 // 00000000BBDC: 6878093C
	v_add_u32_e32 v61, v61, v4                                 // 00000000BBE0: 687A093D
	v_add_u32_e32 v62, v62, v4                                 // 00000000BBE4: 687C093E
	v_add_u32_e32 v63, v63, v4                                 // 00000000BBE8: 687E093F
	v_add_u32_e32 v64, v64, v4                                 // 00000000BBEC: 68800940
	v_add_u32_e32 v65, v65, v4                                 // 00000000BBF0: 68820941
	v_add_u32_e32 v66, v66, v4                                 // 00000000BBF4: 68840942
	v_add_u32_e32 v67, v67, v4                                 // 00000000BBF8: 68860943
	v_add_u32_e32 v68, v68, v4                                 // 00000000BBFC: 68880944
	v_add_u32_e32 v69, v69, v4                                 // 00000000BC00: 688A0945
	s_waitcnt lgkmcnt(0)                                       // 00000000BC04: BF8CC07F
	s_barrier                                                  // 00000000BC08: BF8A0000
	ds_read_b32 v72, v21                                       // 00000000BC0C: D86C0000 48000015
	ds_read_b32 v73, v21 offset:64                             // 00000000BC14: D86C0040 49000015
	ds_read_b32 v76, v21 offset:2176                           // 00000000BC1C: D86C0880 4C000015
	ds_read_b32 v77, v21 offset:2240                           // 00000000BC24: D86C08C0 4D000015
	ds_read_b32 v80, v21 offset:4352                           // 00000000BC2C: D86C1100 50000015
	ds_read_b32 v81, v21 offset:4416                           // 00000000BC34: D86C1140 51000015
	ds_read_b32 v84, v21 offset:6528                           // 00000000BC3C: D86C1980 54000015
	ds_read_b32 v85, v21 offset:6592                           // 00000000BC44: D86C19C0 55000015
	ds_read_b32 v88, v21 offset:8704                           // 00000000BC4C: D86C2200 58000015
	ds_read_b32 v89, v21 offset:8768                           // 00000000BC54: D86C2240 59000015
	ds_read_b32 v92, v21 offset:10880                          // 00000000BC5C: D86C2A80 5C000015
	ds_read_b32 v93, v21 offset:10944                          // 00000000BC64: D86C2AC0 5D000015
	ds_read_b32 v96, v21 offset:13056                          // 00000000BC6C: D86C3300 60000015
	ds_read_b32 v97, v21 offset:13120                          // 00000000BC74: D86C3340 61000015
	ds_read_b32 v100, v21 offset:15232                         // 00000000BC7C: D86C3B80 64000015
	ds_read_b32 v101, v21 offset:15296                         // 00000000BC84: D86C3BC0 65000015
	ds_read_b32 v104, v21 offset:17408                         // 00000000BC8C: D86C4400 68000015
	ds_read_b32 v105, v21 offset:17472                         // 00000000BC94: D86C4440 69000015
	ds_read_b32 v108, v21 offset:19584                         // 00000000BC9C: D86C4C80 6C000015
	ds_read_b32 v109, v21 offset:19648                         // 00000000BCA4: D86C4CC0 6D000015
	ds_read_b32 v112, v21 offset:21760                         // 00000000BCAC: D86C5500 70000015
	ds_read_b32 v113, v21 offset:21824                         // 00000000BCB4: D86C5540 71000015
	ds_read_b32 v116, v21 offset:23936                         // 00000000BCBC: D86C5D80 74000015
	ds_read_b32 v117, v21 offset:24000                         // 00000000BCC4: D86C5DC0 75000015
	ds_read_b32 v120, v21 offset:26112                         // 00000000BCCC: D86C6600 78000015
	ds_read_b32 v121, v21 offset:26176                         // 00000000BCD4: D86C6640 79000015
	ds_read_b32 v124, v21 offset:28288                         // 00000000BCDC: D86C6E80 7C000015
	ds_read_b32 v125, v21 offset:28352                         // 00000000BCE4: D86C6EC0 7D000015
	s_waitcnt lgkmcnt(0)                                       // 00000000BCEC: BF8CC07F
	s_mov_b32 s36, -1                                          // 00000000BCF0: BEA400C1
	s_mov_b32 s37, -1                                          // 00000000BCF4: BEA500C1
	v_mov_b32_e32 v7, 0                                        // 00000000BCF8: 7E0E0280
	s_mov_b64 exec, s[36:37]                                   // 00000000BCFC: BEFE0124
	v_mov_b32_e32 v6, v56                                      // 00000000BD00: 7E0C0338
	s_mov_b64 s[60:61], 0                                      // 00000000BD04: BEBC0180
	v_readlane_b32 s82, v3, 0                                  // 00000000BD08: D2890052 00010103
	s_and_b32 s82, s82, 0xffffff                               // 00000000BD10: 8652FF52 00FFFFFF
	s_cmp_lt_u32 s82, s66                                      // 00000000BD18: BF0A4252
	s_cselect_b32 s20, s36, s60                                // 00000000BD1C: 85143C24
	v_readlane_b32 s82, v3, 1                                  // 00000000BD20: D2890052 00010303
	s_and_b32 s82, s82, 0xffffff                               // 00000000BD28: 8652FF52 00FFFFFF
	s_cmp_lt_u32 s82, s66                                      // 00000000BD30: BF0A4252
	s_cselect_b32 s21, s36, s60                                // 00000000BD34: 85153C24
	s_mov_b64 exec, s[20:21]                                   // 00000000BD38: BEFE0114
	global_atomic_add_f32 v6, v72, s[8:9]                      // 00000000BD3C: DD348000 00084806
	global_atomic_add_f32 v6, v76, s[8:9] offset:256           // 00000000BD44: DD348100 00084C06
	s_mov_b64 exec, s[36:37]                                   // 00000000BD4C: BEFE0124
	v_mov_b32_e32 v6, v57                                      // 00000000BD50: 7E0C0339
	s_mov_b64 s[60:61], 0                                      // 00000000BD54: BEBC0180
	v_readlane_b32 s82, v3, 2                                  // 00000000BD58: D2890052 00010503
	s_and_b32 s82, s82, 0xffffff                               // 00000000BD60: 8652FF52 00FFFFFF
	s_cmp_lt_u32 s82, s66                                      // 00000000BD68: BF0A4252
	s_cselect_b32 s20, s36, s60                                // 00000000BD6C: 85143C24
	v_readlane_b32 s82, v3, 3                                  // 00000000BD70: D2890052 00010703
	s_and_b32 s82, s82, 0xffffff                               // 00000000BD78: 8652FF52 00FFFFFF
	s_cmp_lt_u32 s82, s66                                      // 00000000BD80: BF0A4252
	s_cselect_b32 s21, s36, s60                                // 00000000BD84: 85153C24
	s_mov_b64 exec, s[20:21]                                   // 00000000BD88: BEFE0114
	global_atomic_add_f32 v6, v73, s[8:9]                      // 00000000BD8C: DD348000 00084906
	global_atomic_add_f32 v6, v77, s[8:9] offset:256           // 00000000BD94: DD348100 00084D06
	s_mov_b64 exec, s[36:37]                                   // 00000000BD9C: BEFE0124
	v_mov_b32_e32 v6, v58                                      // 00000000BDA0: 7E0C033A
	s_mov_b64 s[60:61], 0                                      // 00000000BDA4: BEBC0180
	v_readlane_b32 s82, v3, 4                                  // 00000000BDA8: D2890052 00010903
	s_and_b32 s82, s82, 0xffffff                               // 00000000BDB0: 8652FF52 00FFFFFF
	s_cmp_lt_u32 s82, s66                                      // 00000000BDB8: BF0A4252
	s_cselect_b32 s20, s36, s60                                // 00000000BDBC: 85143C24
	v_readlane_b32 s82, v3, 5                                  // 00000000BDC0: D2890052 00010B03
	s_and_b32 s82, s82, 0xffffff                               // 00000000BDC8: 8652FF52 00FFFFFF
	s_cmp_lt_u32 s82, s66                                      // 00000000BDD0: BF0A4252
	s_cselect_b32 s21, s36, s60                                // 00000000BDD4: 85153C24
	s_mov_b64 exec, s[20:21]                                   // 00000000BDD8: BEFE0114
	global_atomic_add_f32 v6, v80, s[8:9]                      // 00000000BDDC: DD348000 00085006
	global_atomic_add_f32 v6, v84, s[8:9] offset:256           // 00000000BDE4: DD348100 00085406
	s_mov_b64 exec, s[36:37]                                   // 00000000BDEC: BEFE0124
	v_mov_b32_e32 v6, v59                                      // 00000000BDF0: 7E0C033B
	s_mov_b64 s[60:61], 0                                      // 00000000BDF4: BEBC0180
	v_readlane_b32 s82, v3, 6                                  // 00000000BDF8: D2890052 00010D03
	s_and_b32 s82, s82, 0xffffff                               // 00000000BE00: 8652FF52 00FFFFFF
	s_cmp_lt_u32 s82, s66                                      // 00000000BE08: BF0A4252
	s_cselect_b32 s20, s36, s60                                // 00000000BE0C: 85143C24
	v_readlane_b32 s82, v3, 7                                  // 00000000BE10: D2890052 00010F03
	s_and_b32 s82, s82, 0xffffff                               // 00000000BE18: 8652FF52 00FFFFFF
	s_cmp_lt_u32 s82, s66                                      // 00000000BE20: BF0A4252
	s_cselect_b32 s21, s36, s60                                // 00000000BE24: 85153C24
	s_mov_b64 exec, s[20:21]                                   // 00000000BE28: BEFE0114
	global_atomic_add_f32 v6, v81, s[8:9]                      // 00000000BE2C: DD348000 00085106
	global_atomic_add_f32 v6, v85, s[8:9] offset:256           // 00000000BE34: DD348100 00085506
	s_mov_b64 exec, s[36:37]                                   // 00000000BE3C: BEFE0124
	v_mov_b32_e32 v6, v60                                      // 00000000BE40: 7E0C033C
	s_mov_b64 s[60:61], 0                                      // 00000000BE44: BEBC0180
	v_readlane_b32 s82, v3, 8                                  // 00000000BE48: D2890052 00011103
	s_and_b32 s82, s82, 0xffffff                               // 00000000BE50: 8652FF52 00FFFFFF
	s_cmp_lt_u32 s82, s66                                      // 00000000BE58: BF0A4252
	s_cselect_b32 s20, s36, s60                                // 00000000BE5C: 85143C24
	v_readlane_b32 s82, v3, 9                                  // 00000000BE60: D2890052 00011303
	s_and_b32 s82, s82, 0xffffff                               // 00000000BE68: 8652FF52 00FFFFFF
	s_cmp_lt_u32 s82, s66                                      // 00000000BE70: BF0A4252
	s_cselect_b32 s21, s36, s60                                // 00000000BE74: 85153C24
	s_mov_b64 exec, s[20:21]                                   // 00000000BE78: BEFE0114
	global_atomic_add_f32 v6, v88, s[8:9]                      // 00000000BE7C: DD348000 00085806
	global_atomic_add_f32 v6, v92, s[8:9] offset:256           // 00000000BE84: DD348100 00085C06
	s_mov_b64 exec, s[36:37]                                   // 00000000BE8C: BEFE0124
	v_mov_b32_e32 v6, v61                                      // 00000000BE90: 7E0C033D
	s_mov_b64 s[60:61], 0                                      // 00000000BE94: BEBC0180
	v_readlane_b32 s82, v3, 10                                 // 00000000BE98: D2890052 00011503
	s_and_b32 s82, s82, 0xffffff                               // 00000000BEA0: 8652FF52 00FFFFFF
	s_cmp_lt_u32 s82, s66                                      // 00000000BEA8: BF0A4252
	s_cselect_b32 s20, s36, s60                                // 00000000BEAC: 85143C24
	v_readlane_b32 s82, v3, 11                                 // 00000000BEB0: D2890052 00011703
	s_and_b32 s82, s82, 0xffffff                               // 00000000BEB8: 8652FF52 00FFFFFF
	s_cmp_lt_u32 s82, s66                                      // 00000000BEC0: BF0A4252
	s_cselect_b32 s21, s36, s60                                // 00000000BEC4: 85153C24
	s_mov_b64 exec, s[20:21]                                   // 00000000BEC8: BEFE0114
	global_atomic_add_f32 v6, v89, s[8:9]                      // 00000000BECC: DD348000 00085906
	global_atomic_add_f32 v6, v93, s[8:9] offset:256           // 00000000BED4: DD348100 00085D06
	s_mov_b64 exec, s[36:37]                                   // 00000000BEDC: BEFE0124
	v_mov_b32_e32 v6, v62                                      // 00000000BEE0: 7E0C033E
	s_mov_b64 s[60:61], 0                                      // 00000000BEE4: BEBC0180
	v_readlane_b32 s82, v3, 12                                 // 00000000BEE8: D2890052 00011903
	s_and_b32 s82, s82, 0xffffff                               // 00000000BEF0: 8652FF52 00FFFFFF
	s_cmp_lt_u32 s82, s66                                      // 00000000BEF8: BF0A4252
	s_cselect_b32 s20, s36, s60                                // 00000000BEFC: 85143C24
	v_readlane_b32 s82, v3, 13                                 // 00000000BF00: D2890052 00011B03
	s_and_b32 s82, s82, 0xffffff                               // 00000000BF08: 8652FF52 00FFFFFF
	s_cmp_lt_u32 s82, s66                                      // 00000000BF10: BF0A4252
	s_cselect_b32 s21, s36, s60                                // 00000000BF14: 85153C24
	s_mov_b64 exec, s[20:21]                                   // 00000000BF18: BEFE0114
	global_atomic_add_f32 v6, v96, s[8:9]                      // 00000000BF1C: DD348000 00086006
	global_atomic_add_f32 v6, v100, s[8:9] offset:256          // 00000000BF24: DD348100 00086406
	s_mov_b64 exec, s[36:37]                                   // 00000000BF2C: BEFE0124
	v_mov_b32_e32 v6, v63                                      // 00000000BF30: 7E0C033F
	s_mov_b64 s[60:61], 0                                      // 00000000BF34: BEBC0180
	v_readlane_b32 s82, v3, 14                                 // 00000000BF38: D2890052 00011D03
	s_and_b32 s82, s82, 0xffffff                               // 00000000BF40: 8652FF52 00FFFFFF
	s_cmp_lt_u32 s82, s66                                      // 00000000BF48: BF0A4252
	s_cselect_b32 s20, s36, s60                                // 00000000BF4C: 85143C24
	v_readlane_b32 s82, v3, 15                                 // 00000000BF50: D2890052 00011F03
	s_and_b32 s82, s82, 0xffffff                               // 00000000BF58: 8652FF52 00FFFFFF
	s_cmp_lt_u32 s82, s66                                      // 00000000BF60: BF0A4252
	s_cselect_b32 s21, s36, s60                                // 00000000BF64: 85153C24
	s_mov_b64 exec, s[20:21]                                   // 00000000BF68: BEFE0114
	global_atomic_add_f32 v6, v97, s[8:9]                      // 00000000BF6C: DD348000 00086106
	global_atomic_add_f32 v6, v101, s[8:9] offset:256          // 00000000BF74: DD348100 00086506
	s_mov_b64 exec, s[36:37]                                   // 00000000BF7C: BEFE0124
	v_mov_b32_e32 v6, v64                                      // 00000000BF80: 7E0C0340
	s_mov_b64 s[60:61], 0                                      // 00000000BF84: BEBC0180
	v_readlane_b32 s82, v3, 16                                 // 00000000BF88: D2890052 00012103
	s_and_b32 s82, s82, 0xffffff                               // 00000000BF90: 8652FF52 00FFFFFF
	s_cmp_lt_u32 s82, s66                                      // 00000000BF98: BF0A4252
	s_cselect_b32 s20, s36, s60                                // 00000000BF9C: 85143C24
	v_readlane_b32 s82, v3, 17                                 // 00000000BFA0: D2890052 00012303
	s_and_b32 s82, s82, 0xffffff                               // 00000000BFA8: 8652FF52 00FFFFFF
	s_cmp_lt_u32 s82, s66                                      // 00000000BFB0: BF0A4252
	s_cselect_b32 s21, s36, s60                                // 00000000BFB4: 85153C24
	s_mov_b64 exec, s[20:21]                                   // 00000000BFB8: BEFE0114
	global_atomic_add_f32 v6, v104, s[8:9]                     // 00000000BFBC: DD348000 00086806
	global_atomic_add_f32 v6, v108, s[8:9] offset:256          // 00000000BFC4: DD348100 00086C06
	s_mov_b64 exec, s[36:37]                                   // 00000000BFCC: BEFE0124
	v_mov_b32_e32 v6, v65                                      // 00000000BFD0: 7E0C0341
	s_mov_b64 s[60:61], 0                                      // 00000000BFD4: BEBC0180
	v_readlane_b32 s82, v3, 18                                 // 00000000BFD8: D2890052 00012503
	s_and_b32 s82, s82, 0xffffff                               // 00000000BFE0: 8652FF52 00FFFFFF
	s_cmp_lt_u32 s82, s66                                      // 00000000BFE8: BF0A4252
	s_cselect_b32 s20, s36, s60                                // 00000000BFEC: 85143C24
	v_readlane_b32 s82, v3, 19                                 // 00000000BFF0: D2890052 00012703
	s_and_b32 s82, s82, 0xffffff                               // 00000000BFF8: 8652FF52 00FFFFFF
	s_cmp_lt_u32 s82, s66                                      // 00000000C000: BF0A4252
	s_cselect_b32 s21, s36, s60                                // 00000000C004: 85153C24
	s_mov_b64 exec, s[20:21]                                   // 00000000C008: BEFE0114
	global_atomic_add_f32 v6, v105, s[8:9]                     // 00000000C00C: DD348000 00086906
	global_atomic_add_f32 v6, v109, s[8:9] offset:256          // 00000000C014: DD348100 00086D06
	s_mov_b64 exec, s[36:37]                                   // 00000000C01C: BEFE0124
	v_mov_b32_e32 v6, v66                                      // 00000000C020: 7E0C0342
	s_mov_b64 s[60:61], 0                                      // 00000000C024: BEBC0180
	v_readlane_b32 s82, v3, 20                                 // 00000000C028: D2890052 00012903
	s_and_b32 s82, s82, 0xffffff                               // 00000000C030: 8652FF52 00FFFFFF
	s_cmp_lt_u32 s82, s66                                      // 00000000C038: BF0A4252
	s_cselect_b32 s20, s36, s60                                // 00000000C03C: 85143C24
	v_readlane_b32 s82, v3, 21                                 // 00000000C040: D2890052 00012B03
	s_and_b32 s82, s82, 0xffffff                               // 00000000C048: 8652FF52 00FFFFFF
	s_cmp_lt_u32 s82, s66                                      // 00000000C050: BF0A4252
	s_cselect_b32 s21, s36, s60                                // 00000000C054: 85153C24
	s_mov_b64 exec, s[20:21]                                   // 00000000C058: BEFE0114
	global_atomic_add_f32 v6, v112, s[8:9]                     // 00000000C05C: DD348000 00087006
	global_atomic_add_f32 v6, v116, s[8:9] offset:256          // 00000000C064: DD348100 00087406
	s_mov_b64 exec, s[36:37]                                   // 00000000C06C: BEFE0124
	v_mov_b32_e32 v6, v67                                      // 00000000C070: 7E0C0343
	s_mov_b64 s[60:61], 0                                      // 00000000C074: BEBC0180
	v_readlane_b32 s82, v3, 22                                 // 00000000C078: D2890052 00012D03
	s_and_b32 s82, s82, 0xffffff                               // 00000000C080: 8652FF52 00FFFFFF
	s_cmp_lt_u32 s82, s66                                      // 00000000C088: BF0A4252
	s_cselect_b32 s20, s36, s60                                // 00000000C08C: 85143C24
	v_readlane_b32 s82, v3, 23                                 // 00000000C090: D2890052 00012F03
	s_and_b32 s82, s82, 0xffffff                               // 00000000C098: 8652FF52 00FFFFFF
	s_cmp_lt_u32 s82, s66                                      // 00000000C0A0: BF0A4252
	s_cselect_b32 s21, s36, s60                                // 00000000C0A4: 85153C24
	s_mov_b64 exec, s[20:21]                                   // 00000000C0A8: BEFE0114
	global_atomic_add_f32 v6, v113, s[8:9]                     // 00000000C0AC: DD348000 00087106
	global_atomic_add_f32 v6, v117, s[8:9] offset:256          // 00000000C0B4: DD348100 00087506
	s_mov_b64 exec, s[36:37]                                   // 00000000C0BC: BEFE0124
	v_mov_b32_e32 v6, v68                                      // 00000000C0C0: 7E0C0344
	s_mov_b64 s[60:61], 0                                      // 00000000C0C4: BEBC0180
	v_readlane_b32 s82, v3, 24                                 // 00000000C0C8: D2890052 00013103
	s_and_b32 s82, s82, 0xffffff                               // 00000000C0D0: 8652FF52 00FFFFFF
	s_cmp_lt_u32 s82, s66                                      // 00000000C0D8: BF0A4252
	s_cselect_b32 s20, s36, s60                                // 00000000C0DC: 85143C24
	v_readlane_b32 s82, v3, 25                                 // 00000000C0E0: D2890052 00013303
	s_and_b32 s82, s82, 0xffffff                               // 00000000C0E8: 8652FF52 00FFFFFF
	s_cmp_lt_u32 s82, s66                                      // 00000000C0F0: BF0A4252
	s_cselect_b32 s21, s36, s60                                // 00000000C0F4: 85153C24
	s_mov_b64 exec, s[20:21]                                   // 00000000C0F8: BEFE0114
	global_atomic_add_f32 v6, v120, s[8:9]                     // 00000000C0FC: DD348000 00087806
	global_atomic_add_f32 v6, v124, s[8:9] offset:256          // 00000000C104: DD348100 00087C06
	s_mov_b64 exec, s[36:37]                                   // 00000000C10C: BEFE0124
	v_mov_b32_e32 v6, v69                                      // 00000000C110: 7E0C0345
	s_mov_b64 s[60:61], 0                                      // 00000000C114: BEBC0180
	v_readlane_b32 s82, v3, 26                                 // 00000000C118: D2890052 00013503
	s_and_b32 s82, s82, 0xffffff                               // 00000000C120: 8652FF52 00FFFFFF
	s_cmp_lt_u32 s82, s66                                      // 00000000C128: BF0A4252
	s_cselect_b32 s20, s36, s60                                // 00000000C12C: 85143C24
	v_readlane_b32 s82, v3, 27                                 // 00000000C130: D2890052 00013703
	s_and_b32 s82, s82, 0xffffff                               // 00000000C138: 8652FF52 00FFFFFF
	s_cmp_lt_u32 s82, s66                                      // 00000000C140: BF0A4252
	s_cselect_b32 s21, s36, s60                                // 00000000C144: 85153C24
	s_mov_b64 exec, s[20:21]                                   // 00000000C148: BEFE0114
	global_atomic_add_f32 v6, v121, s[8:9]                     // 00000000C14C: DD348000 00087906
	global_atomic_add_f32 v6, v125, s[8:9] offset:256          // 00000000C154: DD348100 00087D06
	s_mov_b64 exec, s[36:37]                                   // 00000000C15C: BEFE0124
	ds_write_b64 v20, v[74:75]                                 // 00000000C160: D89A0000 00004A14
	ds_write_b64 v20, v[78:79] offset:4352                     // 00000000C168: D89A1100 00004E14
	ds_write_b64 v20, v[82:83] offset:8704                     // 00000000C170: D89A2200 00005214
	ds_write_b64 v20, v[86:87] offset:13056                    // 00000000C178: D89A3300 00005614
	ds_write_b64 v20, v[90:91] offset:17408                    // 00000000C180: D89A4400 00005A14
	ds_write_b64 v20, v[94:95] offset:21760                    // 00000000C188: D89A5500 00005E14
	ds_write_b64 v20, v[98:99] offset:26112                    // 00000000C190: D89A6600 00006214
	ds_write_b64 v20, v[102:103] offset:2176                   // 00000000C198: D89A0880 00006614
	ds_write_b64 v20, v[106:107] offset:6528                   // 00000000C1A0: D89A1980 00006A14
	ds_write_b64 v20, v[110:111] offset:10880                  // 00000000C1A8: D89A2A80 00006E14
	ds_write_b64 v20, v[114:115] offset:15232                  // 00000000C1B0: D89A3B80 00007214
	ds_write_b64 v20, v[118:119] offset:19584                  // 00000000C1B8: D89A4C80 00007614
	ds_write_b64 v20, v[122:123] offset:23936                  // 00000000C1C0: D89A5D80 00007A14
	ds_write_b64 v20, v[126:127] offset:28288                  // 00000000C1C8: D89A6E80 00007E14
	s_waitcnt lgkmcnt(0)                                       // 00000000C1D0: BF8CC07F
	s_barrier                                                  // 00000000C1D4: BF8A0000
	ds_read_b32 v74, v21                                       // 00000000C1D8: D86C0000 4A000015
	ds_read_b32 v75, v21 offset:64                             // 00000000C1E0: D86C0040 4B000015
	ds_read_b32 v78, v21 offset:2176                           // 00000000C1E8: D86C0880 4E000015
	ds_read_b32 v79, v21 offset:2240                           // 00000000C1F0: D86C08C0 4F000015
	ds_read_b32 v82, v21 offset:4352                           // 00000000C1F8: D86C1100 52000015
	ds_read_b32 v83, v21 offset:4416                           // 00000000C200: D86C1140 53000015
	ds_read_b32 v86, v21 offset:6528                           // 00000000C208: D86C1980 56000015
	ds_read_b32 v87, v21 offset:6592                           // 00000000C210: D86C19C0 57000015
	ds_read_b32 v90, v21 offset:8704                           // 00000000C218: D86C2200 5A000015
	ds_read_b32 v91, v21 offset:8768                           // 00000000C220: D86C2240 5B000015
	ds_read_b32 v94, v21 offset:10880                          // 00000000C228: D86C2A80 5E000015
	ds_read_b32 v95, v21 offset:10944                          // 00000000C230: D86C2AC0 5F000015
	ds_read_b32 v98, v21 offset:13056                          // 00000000C238: D86C3300 62000015
	ds_read_b32 v99, v21 offset:13120                          // 00000000C240: D86C3340 63000015
	ds_read_b32 v102, v21 offset:15232                         // 00000000C248: D86C3B80 66000015
	ds_read_b32 v103, v21 offset:15296                         // 00000000C250: D86C3BC0 67000015
	ds_read_b32 v106, v21 offset:17408                         // 00000000C258: D86C4400 6A000015
	ds_read_b32 v107, v21 offset:17472                         // 00000000C260: D86C4440 6B000015
	ds_read_b32 v110, v21 offset:19584                         // 00000000C268: D86C4C80 6E000015
	ds_read_b32 v111, v21 offset:19648                         // 00000000C270: D86C4CC0 6F000015
	ds_read_b32 v114, v21 offset:21760                         // 00000000C278: D86C5500 72000015
	ds_read_b32 v115, v21 offset:21824                         // 00000000C280: D86C5540 73000015
	ds_read_b32 v118, v21 offset:23936                         // 00000000C288: D86C5D80 76000015
	ds_read_b32 v119, v21 offset:24000                         // 00000000C290: D86C5DC0 77000015
	ds_read_b32 v122, v21 offset:26112                         // 00000000C298: D86C6600 7A000015
	ds_read_b32 v123, v21 offset:26176                         // 00000000C2A0: D86C6640 7B000015
	ds_read_b32 v126, v21 offset:28288                         // 00000000C2A8: D86C6E80 7E000015
	ds_read_b32 v127, v21 offset:28352                         // 00000000C2B0: D86C6EC0 7F000015
	s_waitcnt lgkmcnt(0)                                       // 00000000C2B8: BF8CC07F
	v_mov_b32_e32 v7, 0                                        // 00000000C2BC: 7E0E0280
	s_mov_b64 exec, s[36:37]                                   // 00000000C2C0: BEFE0124
	v_mov_b32_e32 v6, v56                                      // 00000000C2C4: 7E0C0338
	s_mov_b64 s[60:61], 0                                      // 00000000C2C8: BEBC0180
	v_readlane_b32 s82, v3, 0                                  // 00000000C2CC: D2890052 00010103
	s_and_b32 s82, s82, 0xffffff                               // 00000000C2D4: 8652FF52 00FFFFFF
	s_cmp_lt_u32 s82, s66                                      // 00000000C2DC: BF0A4252
	s_cselect_b32 s20, s36, s60                                // 00000000C2E0: 85143C24
	v_readlane_b32 s82, v3, 1                                  // 00000000C2E4: D2890052 00010303
	s_and_b32 s82, s82, 0xffffff                               // 00000000C2EC: 8652FF52 00FFFFFF
	s_cmp_lt_u32 s82, s66                                      // 00000000C2F4: BF0A4252
	s_cselect_b32 s21, s36, s60                                // 00000000C2F8: 85153C24
	s_mov_b64 exec, s[20:21]                                   // 00000000C2FC: BEFE0114
	global_atomic_add_f32 v6, v74, s[8:9] offset:8             // 00000000C300: DD348008 00084A06
	global_atomic_add_f32 v6, v78, s[8:9] offset:264           // 00000000C308: DD348108 00084E06
	s_mov_b64 exec, s[36:37]                                   // 00000000C310: BEFE0124
	v_mov_b32_e32 v6, v57                                      // 00000000C314: 7E0C0339
	s_mov_b64 s[60:61], 0                                      // 00000000C318: BEBC0180
	v_readlane_b32 s82, v3, 2                                  // 00000000C31C: D2890052 00010503
	s_and_b32 s82, s82, 0xffffff                               // 00000000C324: 8652FF52 00FFFFFF
	s_cmp_lt_u32 s82, s66                                      // 00000000C32C: BF0A4252
	s_cselect_b32 s20, s36, s60                                // 00000000C330: 85143C24
	v_readlane_b32 s82, v3, 3                                  // 00000000C334: D2890052 00010703
	s_and_b32 s82, s82, 0xffffff                               // 00000000C33C: 8652FF52 00FFFFFF
	s_cmp_lt_u32 s82, s66                                      // 00000000C344: BF0A4252
	s_cselect_b32 s21, s36, s60                                // 00000000C348: 85153C24
	s_mov_b64 exec, s[20:21]                                   // 00000000C34C: BEFE0114
	global_atomic_add_f32 v6, v75, s[8:9] offset:8             // 00000000C350: DD348008 00084B06
	global_atomic_add_f32 v6, v79, s[8:9] offset:264           // 00000000C358: DD348108 00084F06
	s_mov_b64 exec, s[36:37]                                   // 00000000C360: BEFE0124
	v_mov_b32_e32 v6, v58                                      // 00000000C364: 7E0C033A
	s_mov_b64 s[60:61], 0                                      // 00000000C368: BEBC0180
	v_readlane_b32 s82, v3, 4                                  // 00000000C36C: D2890052 00010903
	s_and_b32 s82, s82, 0xffffff                               // 00000000C374: 8652FF52 00FFFFFF
	s_cmp_lt_u32 s82, s66                                      // 00000000C37C: BF0A4252
	s_cselect_b32 s20, s36, s60                                // 00000000C380: 85143C24
	v_readlane_b32 s82, v3, 5                                  // 00000000C384: D2890052 00010B03
	s_and_b32 s82, s82, 0xffffff                               // 00000000C38C: 8652FF52 00FFFFFF
	s_cmp_lt_u32 s82, s66                                      // 00000000C394: BF0A4252
	s_cselect_b32 s21, s36, s60                                // 00000000C398: 85153C24
	s_mov_b64 exec, s[20:21]                                   // 00000000C39C: BEFE0114
	global_atomic_add_f32 v6, v82, s[8:9] offset:8             // 00000000C3A0: DD348008 00085206
	global_atomic_add_f32 v6, v86, s[8:9] offset:264           // 00000000C3A8: DD348108 00085606
	s_mov_b64 exec, s[36:37]                                   // 00000000C3B0: BEFE0124
	v_mov_b32_e32 v6, v59                                      // 00000000C3B4: 7E0C033B
	s_mov_b64 s[60:61], 0                                      // 00000000C3B8: BEBC0180
	v_readlane_b32 s82, v3, 6                                  // 00000000C3BC: D2890052 00010D03
	s_and_b32 s82, s82, 0xffffff                               // 00000000C3C4: 8652FF52 00FFFFFF
	s_cmp_lt_u32 s82, s66                                      // 00000000C3CC: BF0A4252
	s_cselect_b32 s20, s36, s60                                // 00000000C3D0: 85143C24
	v_readlane_b32 s82, v3, 7                                  // 00000000C3D4: D2890052 00010F03
	s_and_b32 s82, s82, 0xffffff                               // 00000000C3DC: 8652FF52 00FFFFFF
	s_cmp_lt_u32 s82, s66                                      // 00000000C3E4: BF0A4252
	s_cselect_b32 s21, s36, s60                                // 00000000C3E8: 85153C24
	s_mov_b64 exec, s[20:21]                                   // 00000000C3EC: BEFE0114
	global_atomic_add_f32 v6, v83, s[8:9] offset:8             // 00000000C3F0: DD348008 00085306
	global_atomic_add_f32 v6, v87, s[8:9] offset:264           // 00000000C3F8: DD348108 00085706
	s_mov_b64 exec, s[36:37]                                   // 00000000C400: BEFE0124
	v_mov_b32_e32 v6, v60                                      // 00000000C404: 7E0C033C
	s_mov_b64 s[60:61], 0                                      // 00000000C408: BEBC0180
	v_readlane_b32 s82, v3, 8                                  // 00000000C40C: D2890052 00011103
	s_and_b32 s82, s82, 0xffffff                               // 00000000C414: 8652FF52 00FFFFFF
	s_cmp_lt_u32 s82, s66                                      // 00000000C41C: BF0A4252
	s_cselect_b32 s20, s36, s60                                // 00000000C420: 85143C24
	v_readlane_b32 s82, v3, 9                                  // 00000000C424: D2890052 00011303
	s_and_b32 s82, s82, 0xffffff                               // 00000000C42C: 8652FF52 00FFFFFF
	s_cmp_lt_u32 s82, s66                                      // 00000000C434: BF0A4252
	s_cselect_b32 s21, s36, s60                                // 00000000C438: 85153C24
	s_mov_b64 exec, s[20:21]                                   // 00000000C43C: BEFE0114
	global_atomic_add_f32 v6, v90, s[8:9] offset:8             // 00000000C440: DD348008 00085A06
	global_atomic_add_f32 v6, v94, s[8:9] offset:264           // 00000000C448: DD348108 00085E06
	s_mov_b64 exec, s[36:37]                                   // 00000000C450: BEFE0124
	v_mov_b32_e32 v6, v61                                      // 00000000C454: 7E0C033D
	s_mov_b64 s[60:61], 0                                      // 00000000C458: BEBC0180
	v_readlane_b32 s82, v3, 10                                 // 00000000C45C: D2890052 00011503
	s_and_b32 s82, s82, 0xffffff                               // 00000000C464: 8652FF52 00FFFFFF
	s_cmp_lt_u32 s82, s66                                      // 00000000C46C: BF0A4252
	s_cselect_b32 s20, s36, s60                                // 00000000C470: 85143C24
	v_readlane_b32 s82, v3, 11                                 // 00000000C474: D2890052 00011703
	s_and_b32 s82, s82, 0xffffff                               // 00000000C47C: 8652FF52 00FFFFFF
	s_cmp_lt_u32 s82, s66                                      // 00000000C484: BF0A4252
	s_cselect_b32 s21, s36, s60                                // 00000000C488: 85153C24
	s_mov_b64 exec, s[20:21]                                   // 00000000C48C: BEFE0114
	global_atomic_add_f32 v6, v91, s[8:9] offset:8             // 00000000C490: DD348008 00085B06
	global_atomic_add_f32 v6, v95, s[8:9] offset:264           // 00000000C498: DD348108 00085F06
	s_mov_b64 exec, s[36:37]                                   // 00000000C4A0: BEFE0124
	v_mov_b32_e32 v6, v62                                      // 00000000C4A4: 7E0C033E
	s_mov_b64 s[60:61], 0                                      // 00000000C4A8: BEBC0180
	v_readlane_b32 s82, v3, 12                                 // 00000000C4AC: D2890052 00011903
	s_and_b32 s82, s82, 0xffffff                               // 00000000C4B4: 8652FF52 00FFFFFF
	s_cmp_lt_u32 s82, s66                                      // 00000000C4BC: BF0A4252
	s_cselect_b32 s20, s36, s60                                // 00000000C4C0: 85143C24
	v_readlane_b32 s82, v3, 13                                 // 00000000C4C4: D2890052 00011B03
	s_and_b32 s82, s82, 0xffffff                               // 00000000C4CC: 8652FF52 00FFFFFF
	s_cmp_lt_u32 s82, s66                                      // 00000000C4D4: BF0A4252
	s_cselect_b32 s21, s36, s60                                // 00000000C4D8: 85153C24
	s_mov_b64 exec, s[20:21]                                   // 00000000C4DC: BEFE0114
	global_atomic_add_f32 v6, v98, s[8:9] offset:8             // 00000000C4E0: DD348008 00086206
	global_atomic_add_f32 v6, v102, s[8:9] offset:264          // 00000000C4E8: DD348108 00086606
	s_mov_b64 exec, s[36:37]                                   // 00000000C4F0: BEFE0124
	v_mov_b32_e32 v6, v63                                      // 00000000C4F4: 7E0C033F
	s_mov_b64 s[60:61], 0                                      // 00000000C4F8: BEBC0180
	v_readlane_b32 s82, v3, 14                                 // 00000000C4FC: D2890052 00011D03
	s_and_b32 s82, s82, 0xffffff                               // 00000000C504: 8652FF52 00FFFFFF
	s_cmp_lt_u32 s82, s66                                      // 00000000C50C: BF0A4252
	s_cselect_b32 s20, s36, s60                                // 00000000C510: 85143C24
	v_readlane_b32 s82, v3, 15                                 // 00000000C514: D2890052 00011F03
	s_and_b32 s82, s82, 0xffffff                               // 00000000C51C: 8652FF52 00FFFFFF
	s_cmp_lt_u32 s82, s66                                      // 00000000C524: BF0A4252
	s_cselect_b32 s21, s36, s60                                // 00000000C528: 85153C24
	s_mov_b64 exec, s[20:21]                                   // 00000000C52C: BEFE0114
	global_atomic_add_f32 v6, v99, s[8:9] offset:8             // 00000000C530: DD348008 00086306
	global_atomic_add_f32 v6, v103, s[8:9] offset:264          // 00000000C538: DD348108 00086706
	s_mov_b64 exec, s[36:37]                                   // 00000000C540: BEFE0124
	v_mov_b32_e32 v6, v64                                      // 00000000C544: 7E0C0340
	s_mov_b64 s[60:61], 0                                      // 00000000C548: BEBC0180
	v_readlane_b32 s82, v3, 16                                 // 00000000C54C: D2890052 00012103
	s_and_b32 s82, s82, 0xffffff                               // 00000000C554: 8652FF52 00FFFFFF
	s_cmp_lt_u32 s82, s66                                      // 00000000C55C: BF0A4252
	s_cselect_b32 s20, s36, s60                                // 00000000C560: 85143C24
	v_readlane_b32 s82, v3, 17                                 // 00000000C564: D2890052 00012303
	s_and_b32 s82, s82, 0xffffff                               // 00000000C56C: 8652FF52 00FFFFFF
	s_cmp_lt_u32 s82, s66                                      // 00000000C574: BF0A4252
	s_cselect_b32 s21, s36, s60                                // 00000000C578: 85153C24
	s_mov_b64 exec, s[20:21]                                   // 00000000C57C: BEFE0114
	global_atomic_add_f32 v6, v106, s[8:9] offset:8            // 00000000C580: DD348008 00086A06
	global_atomic_add_f32 v6, v110, s[8:9] offset:264          // 00000000C588: DD348108 00086E06
	s_mov_b64 exec, s[36:37]                                   // 00000000C590: BEFE0124
	v_mov_b32_e32 v6, v65                                      // 00000000C594: 7E0C0341
	s_mov_b64 s[60:61], 0                                      // 00000000C598: BEBC0180
	v_readlane_b32 s82, v3, 18                                 // 00000000C59C: D2890052 00012503
	s_and_b32 s82, s82, 0xffffff                               // 00000000C5A4: 8652FF52 00FFFFFF
	s_cmp_lt_u32 s82, s66                                      // 00000000C5AC: BF0A4252
	s_cselect_b32 s20, s36, s60                                // 00000000C5B0: 85143C24
	v_readlane_b32 s82, v3, 19                                 // 00000000C5B4: D2890052 00012703
	s_and_b32 s82, s82, 0xffffff                               // 00000000C5BC: 8652FF52 00FFFFFF
	s_cmp_lt_u32 s82, s66                                      // 00000000C5C4: BF0A4252
	s_cselect_b32 s21, s36, s60                                // 00000000C5C8: 85153C24
	s_mov_b64 exec, s[20:21]                                   // 00000000C5CC: BEFE0114
	global_atomic_add_f32 v6, v107, s[8:9] offset:8            // 00000000C5D0: DD348008 00086B06
	global_atomic_add_f32 v6, v111, s[8:9] offset:264          // 00000000C5D8: DD348108 00086F06
	s_mov_b64 exec, s[36:37]                                   // 00000000C5E0: BEFE0124
	v_mov_b32_e32 v6, v66                                      // 00000000C5E4: 7E0C0342
	s_mov_b64 s[60:61], 0                                      // 00000000C5E8: BEBC0180
	v_readlane_b32 s82, v3, 20                                 // 00000000C5EC: D2890052 00012903
	s_and_b32 s82, s82, 0xffffff                               // 00000000C5F4: 8652FF52 00FFFFFF
	s_cmp_lt_u32 s82, s66                                      // 00000000C5FC: BF0A4252
	s_cselect_b32 s20, s36, s60                                // 00000000C600: 85143C24
	v_readlane_b32 s82, v3, 21                                 // 00000000C604: D2890052 00012B03
	s_and_b32 s82, s82, 0xffffff                               // 00000000C60C: 8652FF52 00FFFFFF
	s_cmp_lt_u32 s82, s66                                      // 00000000C614: BF0A4252
	s_cselect_b32 s21, s36, s60                                // 00000000C618: 85153C24
	s_mov_b64 exec, s[20:21]                                   // 00000000C61C: BEFE0114
	global_atomic_add_f32 v6, v114, s[8:9] offset:8            // 00000000C620: DD348008 00087206
	global_atomic_add_f32 v6, v118, s[8:9] offset:264          // 00000000C628: DD348108 00087606
	s_mov_b64 exec, s[36:37]                                   // 00000000C630: BEFE0124
	v_mov_b32_e32 v6, v67                                      // 00000000C634: 7E0C0343
	s_mov_b64 s[60:61], 0                                      // 00000000C638: BEBC0180
	v_readlane_b32 s82, v3, 22                                 // 00000000C63C: D2890052 00012D03
	s_and_b32 s82, s82, 0xffffff                               // 00000000C644: 8652FF52 00FFFFFF
	s_cmp_lt_u32 s82, s66                                      // 00000000C64C: BF0A4252
	s_cselect_b32 s20, s36, s60                                // 00000000C650: 85143C24
	v_readlane_b32 s82, v3, 23                                 // 00000000C654: D2890052 00012F03
	s_and_b32 s82, s82, 0xffffff                               // 00000000C65C: 8652FF52 00FFFFFF
	s_cmp_lt_u32 s82, s66                                      // 00000000C664: BF0A4252
	s_cselect_b32 s21, s36, s60                                // 00000000C668: 85153C24
	s_mov_b64 exec, s[20:21]                                   // 00000000C66C: BEFE0114
	global_atomic_add_f32 v6, v115, s[8:9] offset:8            // 00000000C670: DD348008 00087306
	global_atomic_add_f32 v6, v119, s[8:9] offset:264          // 00000000C678: DD348108 00087706
	s_mov_b64 exec, s[36:37]                                   // 00000000C680: BEFE0124
	v_mov_b32_e32 v6, v68                                      // 00000000C684: 7E0C0344
	s_mov_b64 s[60:61], 0                                      // 00000000C688: BEBC0180
	v_readlane_b32 s82, v3, 24                                 // 00000000C68C: D2890052 00013103
	s_and_b32 s82, s82, 0xffffff                               // 00000000C694: 8652FF52 00FFFFFF
	s_cmp_lt_u32 s82, s66                                      // 00000000C69C: BF0A4252
	s_cselect_b32 s20, s36, s60                                // 00000000C6A0: 85143C24
	v_readlane_b32 s82, v3, 25                                 // 00000000C6A4: D2890052 00013303
	s_and_b32 s82, s82, 0xffffff                               // 00000000C6AC: 8652FF52 00FFFFFF
	s_cmp_lt_u32 s82, s66                                      // 00000000C6B4: BF0A4252
	s_cselect_b32 s21, s36, s60                                // 00000000C6B8: 85153C24
	s_mov_b64 exec, s[20:21]                                   // 00000000C6BC: BEFE0114
	global_atomic_add_f32 v6, v122, s[8:9] offset:8            // 00000000C6C0: DD348008 00087A06
	global_atomic_add_f32 v6, v126, s[8:9] offset:264          // 00000000C6C8: DD348108 00087E06
	s_mov_b64 exec, s[36:37]                                   // 00000000C6D0: BEFE0124
	v_mov_b32_e32 v6, v69                                      // 00000000C6D4: 7E0C0345
	s_mov_b64 s[60:61], 0                                      // 00000000C6D8: BEBC0180
	v_readlane_b32 s82, v3, 26                                 // 00000000C6DC: D2890052 00013503
	s_and_b32 s82, s82, 0xffffff                               // 00000000C6E4: 8652FF52 00FFFFFF
	s_cmp_lt_u32 s82, s66                                      // 00000000C6EC: BF0A4252
	s_cselect_b32 s20, s36, s60                                // 00000000C6F0: 85143C24
	v_readlane_b32 s82, v3, 27                                 // 00000000C6F4: D2890052 00013703
	s_and_b32 s82, s82, 0xffffff                               // 00000000C6FC: 8652FF52 00FFFFFF
	s_cmp_lt_u32 s82, s66                                      // 00000000C704: BF0A4252
	s_cselect_b32 s21, s36, s60                                // 00000000C708: 85153C24
	s_mov_b64 exec, s[20:21]                                   // 00000000C70C: BEFE0114
	global_atomic_add_f32 v6, v123, s[8:9] offset:8            // 00000000C710: DD348008 00087B06
	global_atomic_add_f32 v6, v127, s[8:9] offset:264          // 00000000C718: DD348108 00087F06
	s_mov_b64 exec, s[36:37]                                   // 00000000C720: BEFE0124
	ds_write_b64 v20, v[128:129]                               // 00000000C724: D89A0000 00008014
	ds_write_b64 v20, v[132:133] offset:4352                   // 00000000C72C: D89A1100 00008414
	ds_write_b64 v20, v[136:137] offset:8704                   // 00000000C734: D89A2200 00008814
	ds_write_b64 v20, v[140:141] offset:13056                  // 00000000C73C: D89A3300 00008C14
	ds_write_b64 v20, v[144:145] offset:17408                  // 00000000C744: D89A4400 00009014
	ds_write_b64 v20, v[148:149] offset:21760                  // 00000000C74C: D89A5500 00009414
	ds_write_b64 v20, v[152:153] offset:26112                  // 00000000C754: D89A6600 00009814
	ds_write_b64 v20, v[156:157] offset:2176                   // 00000000C75C: D89A0880 00009C14
	ds_write_b64 v20, v[160:161] offset:6528                   // 00000000C764: D89A1980 0000A014
	ds_write_b64 v20, v[164:165] offset:10880                  // 00000000C76C: D89A2A80 0000A414
	ds_write_b64 v20, v[168:169] offset:15232                  // 00000000C774: D89A3B80 0000A814
	ds_write_b64 v20, v[172:173] offset:19584                  // 00000000C77C: D89A4C80 0000AC14
	ds_write_b64 v20, v[176:177] offset:23936                  // 00000000C784: D89A5D80 0000B014
	ds_write_b64 v20, v[180:181] offset:28288                  // 00000000C78C: D89A6E80 0000B414
	s_waitcnt lgkmcnt(0)                                       // 00000000C794: BF8CC07F
	s_barrier                                                  // 00000000C798: BF8A0000
	ds_read_b32 v128, v21                                      // 00000000C79C: D86C0000 80000015
	ds_read_b32 v129, v21 offset:64                            // 00000000C7A4: D86C0040 81000015
	ds_read_b32 v132, v21 offset:2176                          // 00000000C7AC: D86C0880 84000015
	ds_read_b32 v133, v21 offset:2240                          // 00000000C7B4: D86C08C0 85000015
	ds_read_b32 v136, v21 offset:4352                          // 00000000C7BC: D86C1100 88000015
	ds_read_b32 v137, v21 offset:4416                          // 00000000C7C4: D86C1140 89000015
	ds_read_b32 v140, v21 offset:6528                          // 00000000C7CC: D86C1980 8C000015
	ds_read_b32 v141, v21 offset:6592                          // 00000000C7D4: D86C19C0 8D000015
	ds_read_b32 v144, v21 offset:8704                          // 00000000C7DC: D86C2200 90000015
	ds_read_b32 v145, v21 offset:8768                          // 00000000C7E4: D86C2240 91000015
	ds_read_b32 v148, v21 offset:10880                         // 00000000C7EC: D86C2A80 94000015
	ds_read_b32 v149, v21 offset:10944                         // 00000000C7F4: D86C2AC0 95000015
	ds_read_b32 v152, v21 offset:13056                         // 00000000C7FC: D86C3300 98000015
	ds_read_b32 v153, v21 offset:13120                         // 00000000C804: D86C3340 99000015
	ds_read_b32 v156, v21 offset:15232                         // 00000000C80C: D86C3B80 9C000015
	ds_read_b32 v157, v21 offset:15296                         // 00000000C814: D86C3BC0 9D000015
	ds_read_b32 v160, v21 offset:17408                         // 00000000C81C: D86C4400 A0000015
	ds_read_b32 v161, v21 offset:17472                         // 00000000C824: D86C4440 A1000015
	ds_read_b32 v164, v21 offset:19584                         // 00000000C82C: D86C4C80 A4000015
	ds_read_b32 v165, v21 offset:19648                         // 00000000C834: D86C4CC0 A5000015
	ds_read_b32 v168, v21 offset:21760                         // 00000000C83C: D86C5500 A8000015
	ds_read_b32 v169, v21 offset:21824                         // 00000000C844: D86C5540 A9000015
	ds_read_b32 v172, v21 offset:23936                         // 00000000C84C: D86C5D80 AC000015
	ds_read_b32 v173, v21 offset:24000                         // 00000000C854: D86C5DC0 AD000015
	ds_read_b32 v176, v21 offset:26112                         // 00000000C85C: D86C6600 B0000015
	ds_read_b32 v177, v21 offset:26176                         // 00000000C864: D86C6640 B1000015
	ds_read_b32 v180, v21 offset:28288                         // 00000000C86C: D86C6E80 B4000015
	ds_read_b32 v181, v21 offset:28352                         // 00000000C874: D86C6EC0 B5000015
	s_mul_i32 s60, s65, 4                                      // 00000000C87C: 923C8441
	s_add_u32 s8, s60, s8                                      // 00000000C880: 8008083C
	s_addc_u32 s9, 0, s9                                       // 00000000C884: 82090980
	s_waitcnt lgkmcnt(0)                                       // 00000000C888: BF8CC07F
	v_mov_b32_e32 v7, 0                                        // 00000000C88C: 7E0E0280
	s_mov_b64 exec, s[36:37]                                   // 00000000C890: BEFE0124
	v_mov_b32_e32 v6, v56                                      // 00000000C894: 7E0C0338
	s_mov_b64 s[60:61], 0                                      // 00000000C898: BEBC0180
	v_readlane_b32 s82, v3, 0                                  // 00000000C89C: D2890052 00010103
	s_and_b32 s82, s82, 0xffffff                               // 00000000C8A4: 8652FF52 00FFFFFF
	s_cmp_lt_u32 s82, s66                                      // 00000000C8AC: BF0A4252
	s_cselect_b32 s20, s36, s60                                // 00000000C8B0: 85143C24
	v_readlane_b32 s82, v3, 1                                  // 00000000C8B4: D2890052 00010303
	s_and_b32 s82, s82, 0xffffff                               // 00000000C8BC: 8652FF52 00FFFFFF
	s_cmp_lt_u32 s82, s66                                      // 00000000C8C4: BF0A4252
	s_cselect_b32 s21, s36, s60                                // 00000000C8C8: 85153C24
	s_mov_b64 exec, s[20:21]                                   // 00000000C8CC: BEFE0114
	global_atomic_add_f32 v6, v128, s[8:9]                     // 00000000C8D0: DD348000 00088006
	global_atomic_add_f32 v6, v132, s[8:9] offset:256          // 00000000C8D8: DD348100 00088406
	s_mov_b64 exec, s[36:37]                                   // 00000000C8E0: BEFE0124
	v_mov_b32_e32 v6, v57                                      // 00000000C8E4: 7E0C0339
	s_mov_b64 s[60:61], 0                                      // 00000000C8E8: BEBC0180
	v_readlane_b32 s82, v3, 2                                  // 00000000C8EC: D2890052 00010503
	s_and_b32 s82, s82, 0xffffff                               // 00000000C8F4: 8652FF52 00FFFFFF
	s_cmp_lt_u32 s82, s66                                      // 00000000C8FC: BF0A4252
	s_cselect_b32 s20, s36, s60                                // 00000000C900: 85143C24
	v_readlane_b32 s82, v3, 3                                  // 00000000C904: D2890052 00010703
	s_and_b32 s82, s82, 0xffffff                               // 00000000C90C: 8652FF52 00FFFFFF
	s_cmp_lt_u32 s82, s66                                      // 00000000C914: BF0A4252
	s_cselect_b32 s21, s36, s60                                // 00000000C918: 85153C24
	s_mov_b64 exec, s[20:21]                                   // 00000000C91C: BEFE0114
	global_atomic_add_f32 v6, v129, s[8:9]                     // 00000000C920: DD348000 00088106
	global_atomic_add_f32 v6, v133, s[8:9] offset:256          // 00000000C928: DD348100 00088506
	s_mov_b64 exec, s[36:37]                                   // 00000000C930: BEFE0124
	v_mov_b32_e32 v6, v58                                      // 00000000C934: 7E0C033A
	s_mov_b64 s[60:61], 0                                      // 00000000C938: BEBC0180
	v_readlane_b32 s82, v3, 4                                  // 00000000C93C: D2890052 00010903
	s_and_b32 s82, s82, 0xffffff                               // 00000000C944: 8652FF52 00FFFFFF
	s_cmp_lt_u32 s82, s66                                      // 00000000C94C: BF0A4252
	s_cselect_b32 s20, s36, s60                                // 00000000C950: 85143C24
	v_readlane_b32 s82, v3, 5                                  // 00000000C954: D2890052 00010B03
	s_and_b32 s82, s82, 0xffffff                               // 00000000C95C: 8652FF52 00FFFFFF
	s_cmp_lt_u32 s82, s66                                      // 00000000C964: BF0A4252
	s_cselect_b32 s21, s36, s60                                // 00000000C968: 85153C24
	s_mov_b64 exec, s[20:21]                                   // 00000000C96C: BEFE0114
	global_atomic_add_f32 v6, v136, s[8:9]                     // 00000000C970: DD348000 00088806
	global_atomic_add_f32 v6, v140, s[8:9] offset:256          // 00000000C978: DD348100 00088C06
	s_mov_b64 exec, s[36:37]                                   // 00000000C980: BEFE0124
	v_mov_b32_e32 v6, v59                                      // 00000000C984: 7E0C033B
	s_mov_b64 s[60:61], 0                                      // 00000000C988: BEBC0180
	v_readlane_b32 s82, v3, 6                                  // 00000000C98C: D2890052 00010D03
	s_and_b32 s82, s82, 0xffffff                               // 00000000C994: 8652FF52 00FFFFFF
	s_cmp_lt_u32 s82, s66                                      // 00000000C99C: BF0A4252
	s_cselect_b32 s20, s36, s60                                // 00000000C9A0: 85143C24
	v_readlane_b32 s82, v3, 7                                  // 00000000C9A4: D2890052 00010F03
	s_and_b32 s82, s82, 0xffffff                               // 00000000C9AC: 8652FF52 00FFFFFF
	s_cmp_lt_u32 s82, s66                                      // 00000000C9B4: BF0A4252
	s_cselect_b32 s21, s36, s60                                // 00000000C9B8: 85153C24
	s_mov_b64 exec, s[20:21]                                   // 00000000C9BC: BEFE0114
	global_atomic_add_f32 v6, v137, s[8:9]                     // 00000000C9C0: DD348000 00088906
	global_atomic_add_f32 v6, v141, s[8:9] offset:256          // 00000000C9C8: DD348100 00088D06
	s_mov_b64 exec, s[36:37]                                   // 00000000C9D0: BEFE0124
	v_mov_b32_e32 v6, v60                                      // 00000000C9D4: 7E0C033C
	s_mov_b64 s[60:61], 0                                      // 00000000C9D8: BEBC0180
	v_readlane_b32 s82, v3, 8                                  // 00000000C9DC: D2890052 00011103
	s_and_b32 s82, s82, 0xffffff                               // 00000000C9E4: 8652FF52 00FFFFFF
	s_cmp_lt_u32 s82, s66                                      // 00000000C9EC: BF0A4252
	s_cselect_b32 s20, s36, s60                                // 00000000C9F0: 85143C24
	v_readlane_b32 s82, v3, 9                                  // 00000000C9F4: D2890052 00011303
	s_and_b32 s82, s82, 0xffffff                               // 00000000C9FC: 8652FF52 00FFFFFF
	s_cmp_lt_u32 s82, s66                                      // 00000000CA04: BF0A4252
	s_cselect_b32 s21, s36, s60                                // 00000000CA08: 85153C24
	s_mov_b64 exec, s[20:21]                                   // 00000000CA0C: BEFE0114
	global_atomic_add_f32 v6, v144, s[8:9]                     // 00000000CA10: DD348000 00089006
	global_atomic_add_f32 v6, v148, s[8:9] offset:256          // 00000000CA18: DD348100 00089406
	s_mov_b64 exec, s[36:37]                                   // 00000000CA20: BEFE0124
	v_mov_b32_e32 v6, v61                                      // 00000000CA24: 7E0C033D
	s_mov_b64 s[60:61], 0                                      // 00000000CA28: BEBC0180
	v_readlane_b32 s82, v3, 10                                 // 00000000CA2C: D2890052 00011503
	s_and_b32 s82, s82, 0xffffff                               // 00000000CA34: 8652FF52 00FFFFFF
	s_cmp_lt_u32 s82, s66                                      // 00000000CA3C: BF0A4252
	s_cselect_b32 s20, s36, s60                                // 00000000CA40: 85143C24
	v_readlane_b32 s82, v3, 11                                 // 00000000CA44: D2890052 00011703
	s_and_b32 s82, s82, 0xffffff                               // 00000000CA4C: 8652FF52 00FFFFFF
	s_cmp_lt_u32 s82, s66                                      // 00000000CA54: BF0A4252
	s_cselect_b32 s21, s36, s60                                // 00000000CA58: 85153C24
	s_mov_b64 exec, s[20:21]                                   // 00000000CA5C: BEFE0114
	global_atomic_add_f32 v6, v145, s[8:9]                     // 00000000CA60: DD348000 00089106
	global_atomic_add_f32 v6, v149, s[8:9] offset:256          // 00000000CA68: DD348100 00089506
	s_mov_b64 exec, s[36:37]                                   // 00000000CA70: BEFE0124
	v_mov_b32_e32 v6, v62                                      // 00000000CA74: 7E0C033E
	s_mov_b64 s[60:61], 0                                      // 00000000CA78: BEBC0180
	v_readlane_b32 s82, v3, 12                                 // 00000000CA7C: D2890052 00011903
	s_and_b32 s82, s82, 0xffffff                               // 00000000CA84: 8652FF52 00FFFFFF
	s_cmp_lt_u32 s82, s66                                      // 00000000CA8C: BF0A4252
	s_cselect_b32 s20, s36, s60                                // 00000000CA90: 85143C24
	v_readlane_b32 s82, v3, 13                                 // 00000000CA94: D2890052 00011B03
	s_and_b32 s82, s82, 0xffffff                               // 00000000CA9C: 8652FF52 00FFFFFF
	s_cmp_lt_u32 s82, s66                                      // 00000000CAA4: BF0A4252
	s_cselect_b32 s21, s36, s60                                // 00000000CAA8: 85153C24
	s_mov_b64 exec, s[20:21]                                   // 00000000CAAC: BEFE0114
	global_atomic_add_f32 v6, v152, s[8:9]                     // 00000000CAB0: DD348000 00089806
	global_atomic_add_f32 v6, v156, s[8:9] offset:256          // 00000000CAB8: DD348100 00089C06
	s_mov_b64 exec, s[36:37]                                   // 00000000CAC0: BEFE0124
	v_mov_b32_e32 v6, v63                                      // 00000000CAC4: 7E0C033F
	s_mov_b64 s[60:61], 0                                      // 00000000CAC8: BEBC0180
	v_readlane_b32 s82, v3, 14                                 // 00000000CACC: D2890052 00011D03
	s_and_b32 s82, s82, 0xffffff                               // 00000000CAD4: 8652FF52 00FFFFFF
	s_cmp_lt_u32 s82, s66                                      // 00000000CADC: BF0A4252
	s_cselect_b32 s20, s36, s60                                // 00000000CAE0: 85143C24
	v_readlane_b32 s82, v3, 15                                 // 00000000CAE4: D2890052 00011F03
	s_and_b32 s82, s82, 0xffffff                               // 00000000CAEC: 8652FF52 00FFFFFF
	s_cmp_lt_u32 s82, s66                                      // 00000000CAF4: BF0A4252
	s_cselect_b32 s21, s36, s60                                // 00000000CAF8: 85153C24
	s_mov_b64 exec, s[20:21]                                   // 00000000CAFC: BEFE0114
	global_atomic_add_f32 v6, v153, s[8:9]                     // 00000000CB00: DD348000 00089906
	global_atomic_add_f32 v6, v157, s[8:9] offset:256          // 00000000CB08: DD348100 00089D06
	s_mov_b64 exec, s[36:37]                                   // 00000000CB10: BEFE0124
	v_mov_b32_e32 v6, v64                                      // 00000000CB14: 7E0C0340
	s_mov_b64 s[60:61], 0                                      // 00000000CB18: BEBC0180
	v_readlane_b32 s82, v3, 16                                 // 00000000CB1C: D2890052 00012103
	s_and_b32 s82, s82, 0xffffff                               // 00000000CB24: 8652FF52 00FFFFFF
	s_cmp_lt_u32 s82, s66                                      // 00000000CB2C: BF0A4252
	s_cselect_b32 s20, s36, s60                                // 00000000CB30: 85143C24
	v_readlane_b32 s82, v3, 17                                 // 00000000CB34: D2890052 00012303
	s_and_b32 s82, s82, 0xffffff                               // 00000000CB3C: 8652FF52 00FFFFFF
	s_cmp_lt_u32 s82, s66                                      // 00000000CB44: BF0A4252
	s_cselect_b32 s21, s36, s60                                // 00000000CB48: 85153C24
	s_mov_b64 exec, s[20:21]                                   // 00000000CB4C: BEFE0114
	global_atomic_add_f32 v6, v160, s[8:9]                     // 00000000CB50: DD348000 0008A006
	global_atomic_add_f32 v6, v164, s[8:9] offset:256          // 00000000CB58: DD348100 0008A406
	s_mov_b64 exec, s[36:37]                                   // 00000000CB60: BEFE0124
	v_mov_b32_e32 v6, v65                                      // 00000000CB64: 7E0C0341
	s_mov_b64 s[60:61], 0                                      // 00000000CB68: BEBC0180
	v_readlane_b32 s82, v3, 18                                 // 00000000CB6C: D2890052 00012503
	s_and_b32 s82, s82, 0xffffff                               // 00000000CB74: 8652FF52 00FFFFFF
	s_cmp_lt_u32 s82, s66                                      // 00000000CB7C: BF0A4252
	s_cselect_b32 s20, s36, s60                                // 00000000CB80: 85143C24
	v_readlane_b32 s82, v3, 19                                 // 00000000CB84: D2890052 00012703
	s_and_b32 s82, s82, 0xffffff                               // 00000000CB8C: 8652FF52 00FFFFFF
	s_cmp_lt_u32 s82, s66                                      // 00000000CB94: BF0A4252
	s_cselect_b32 s21, s36, s60                                // 00000000CB98: 85153C24
	s_mov_b64 exec, s[20:21]                                   // 00000000CB9C: BEFE0114
	global_atomic_add_f32 v6, v161, s[8:9]                     // 00000000CBA0: DD348000 0008A106
	global_atomic_add_f32 v6, v165, s[8:9] offset:256          // 00000000CBA8: DD348100 0008A506
	s_mov_b64 exec, s[36:37]                                   // 00000000CBB0: BEFE0124
	v_mov_b32_e32 v6, v66                                      // 00000000CBB4: 7E0C0342
	s_mov_b64 s[60:61], 0                                      // 00000000CBB8: BEBC0180
	v_readlane_b32 s82, v3, 20                                 // 00000000CBBC: D2890052 00012903
	s_and_b32 s82, s82, 0xffffff                               // 00000000CBC4: 8652FF52 00FFFFFF
	s_cmp_lt_u32 s82, s66                                      // 00000000CBCC: BF0A4252
	s_cselect_b32 s20, s36, s60                                // 00000000CBD0: 85143C24
	v_readlane_b32 s82, v3, 21                                 // 00000000CBD4: D2890052 00012B03
	s_and_b32 s82, s82, 0xffffff                               // 00000000CBDC: 8652FF52 00FFFFFF
	s_cmp_lt_u32 s82, s66                                      // 00000000CBE4: BF0A4252
	s_cselect_b32 s21, s36, s60                                // 00000000CBE8: 85153C24
	s_mov_b64 exec, s[20:21]                                   // 00000000CBEC: BEFE0114
	global_atomic_add_f32 v6, v168, s[8:9]                     // 00000000CBF0: DD348000 0008A806
	global_atomic_add_f32 v6, v172, s[8:9] offset:256          // 00000000CBF8: DD348100 0008AC06
	s_mov_b64 exec, s[36:37]                                   // 00000000CC00: BEFE0124
	v_mov_b32_e32 v6, v67                                      // 00000000CC04: 7E0C0343
	s_mov_b64 s[60:61], 0                                      // 00000000CC08: BEBC0180
	v_readlane_b32 s82, v3, 22                                 // 00000000CC0C: D2890052 00012D03
	s_and_b32 s82, s82, 0xffffff                               // 00000000CC14: 8652FF52 00FFFFFF
	s_cmp_lt_u32 s82, s66                                      // 00000000CC1C: BF0A4252
	s_cselect_b32 s20, s36, s60                                // 00000000CC20: 85143C24
	v_readlane_b32 s82, v3, 23                                 // 00000000CC24: D2890052 00012F03
	s_and_b32 s82, s82, 0xffffff                               // 00000000CC2C: 8652FF52 00FFFFFF
	s_cmp_lt_u32 s82, s66                                      // 00000000CC34: BF0A4252
	s_cselect_b32 s21, s36, s60                                // 00000000CC38: 85153C24
	s_mov_b64 exec, s[20:21]                                   // 00000000CC3C: BEFE0114
	global_atomic_add_f32 v6, v169, s[8:9]                     // 00000000CC40: DD348000 0008A906
	global_atomic_add_f32 v6, v173, s[8:9] offset:256          // 00000000CC48: DD348100 0008AD06
	s_mov_b64 exec, s[36:37]                                   // 00000000CC50: BEFE0124
	v_mov_b32_e32 v6, v68                                      // 00000000CC54: 7E0C0344
	s_mov_b64 s[60:61], 0                                      // 00000000CC58: BEBC0180
	v_readlane_b32 s82, v3, 24                                 // 00000000CC5C: D2890052 00013103
	s_and_b32 s82, s82, 0xffffff                               // 00000000CC64: 8652FF52 00FFFFFF
	s_cmp_lt_u32 s82, s66                                      // 00000000CC6C: BF0A4252
	s_cselect_b32 s20, s36, s60                                // 00000000CC70: 85143C24
	v_readlane_b32 s82, v3, 25                                 // 00000000CC74: D2890052 00013303
	s_and_b32 s82, s82, 0xffffff                               // 00000000CC7C: 8652FF52 00FFFFFF
	s_cmp_lt_u32 s82, s66                                      // 00000000CC84: BF0A4252
	s_cselect_b32 s21, s36, s60                                // 00000000CC88: 85153C24
	s_mov_b64 exec, s[20:21]                                   // 00000000CC8C: BEFE0114
	global_atomic_add_f32 v6, v176, s[8:9]                     // 00000000CC90: DD348000 0008B006
	global_atomic_add_f32 v6, v180, s[8:9] offset:256          // 00000000CC98: DD348100 0008B406
	s_mov_b64 exec, s[36:37]                                   // 00000000CCA0: BEFE0124
	v_mov_b32_e32 v6, v69                                      // 00000000CCA4: 7E0C0345
	s_mov_b64 s[60:61], 0                                      // 00000000CCA8: BEBC0180
	v_readlane_b32 s82, v3, 26                                 // 00000000CCAC: D2890052 00013503
	s_and_b32 s82, s82, 0xffffff                               // 00000000CCB4: 8652FF52 00FFFFFF
	s_cmp_lt_u32 s82, s66                                      // 00000000CCBC: BF0A4252
	s_cselect_b32 s20, s36, s60                                // 00000000CCC0: 85143C24
	v_readlane_b32 s82, v3, 27                                 // 00000000CCC4: D2890052 00013703
	s_and_b32 s82, s82, 0xffffff                               // 00000000CCCC: 8652FF52 00FFFFFF
	s_cmp_lt_u32 s82, s66                                      // 00000000CCD4: BF0A4252
	s_cselect_b32 s21, s36, s60                                // 00000000CCD8: 85153C24
	s_mov_b64 exec, s[20:21]                                   // 00000000CCDC: BEFE0114
	global_atomic_add_f32 v6, v177, s[8:9]                     // 00000000CCE0: DD348000 0008B106
	global_atomic_add_f32 v6, v181, s[8:9] offset:256          // 00000000CCE8: DD348100 0008B506
	s_mov_b64 exec, s[36:37]                                   // 00000000CCF0: BEFE0124
	ds_write_b64 v20, v[130:131]                               // 00000000CCF4: D89A0000 00008214
	ds_write_b64 v20, v[134:135] offset:4352                   // 00000000CCFC: D89A1100 00008614
	ds_write_b64 v20, v[138:139] offset:8704                   // 00000000CD04: D89A2200 00008A14
	ds_write_b64 v20, v[142:143] offset:13056                  // 00000000CD0C: D89A3300 00008E14
	ds_write_b64 v20, v[146:147] offset:17408                  // 00000000CD14: D89A4400 00009214
	ds_write_b64 v20, v[150:151] offset:21760                  // 00000000CD1C: D89A5500 00009614
	ds_write_b64 v20, v[154:155] offset:26112                  // 00000000CD24: D89A6600 00009A14
	ds_write_b64 v20, v[158:159] offset:2176                   // 00000000CD2C: D89A0880 00009E14
	ds_write_b64 v20, v[162:163] offset:6528                   // 00000000CD34: D89A1980 0000A214
	ds_write_b64 v20, v[166:167] offset:10880                  // 00000000CD3C: D89A2A80 0000A614
	ds_write_b64 v20, v[170:171] offset:15232                  // 00000000CD44: D89A3B80 0000AA14
	ds_write_b64 v20, v[174:175] offset:19584                  // 00000000CD4C: D89A4C80 0000AE14
	ds_write_b64 v20, v[178:179] offset:23936                  // 00000000CD54: D89A5D80 0000B214
	ds_write_b64 v20, v[182:183] offset:28288                  // 00000000CD5C: D89A6E80 0000B614
	s_waitcnt lgkmcnt(0)                                       // 00000000CD64: BF8CC07F
	s_barrier                                                  // 00000000CD68: BF8A0000
	ds_read_b32 v130, v21                                      // 00000000CD6C: D86C0000 82000015
	ds_read_b32 v131, v21 offset:64                            // 00000000CD74: D86C0040 83000015
	ds_read_b32 v134, v21 offset:2176                          // 00000000CD7C: D86C0880 86000015
	ds_read_b32 v135, v21 offset:2240                          // 00000000CD84: D86C08C0 87000015
	ds_read_b32 v138, v21 offset:4352                          // 00000000CD8C: D86C1100 8A000015
	ds_read_b32 v139, v21 offset:4416                          // 00000000CD94: D86C1140 8B000015
	ds_read_b32 v142, v21 offset:6528                          // 00000000CD9C: D86C1980 8E000015
	ds_read_b32 v143, v21 offset:6592                          // 00000000CDA4: D86C19C0 8F000015
	ds_read_b32 v146, v21 offset:8704                          // 00000000CDAC: D86C2200 92000015
	ds_read_b32 v147, v21 offset:8768                          // 00000000CDB4: D86C2240 93000015
	ds_read_b32 v150, v21 offset:10880                         // 00000000CDBC: D86C2A80 96000015
	ds_read_b32 v151, v21 offset:10944                         // 00000000CDC4: D86C2AC0 97000015
	ds_read_b32 v154, v21 offset:13056                         // 00000000CDCC: D86C3300 9A000015
	ds_read_b32 v155, v21 offset:13120                         // 00000000CDD4: D86C3340 9B000015
	ds_read_b32 v158, v21 offset:15232                         // 00000000CDDC: D86C3B80 9E000015
	ds_read_b32 v159, v21 offset:15296                         // 00000000CDE4: D86C3BC0 9F000015
	ds_read_b32 v162, v21 offset:17408                         // 00000000CDEC: D86C4400 A2000015
	ds_read_b32 v163, v21 offset:17472                         // 00000000CDF4: D86C4440 A3000015
	ds_read_b32 v166, v21 offset:19584                         // 00000000CDFC: D86C4C80 A6000015
	ds_read_b32 v167, v21 offset:19648                         // 00000000CE04: D86C4CC0 A7000015
	ds_read_b32 v170, v21 offset:21760                         // 00000000CE0C: D86C5500 AA000015
	ds_read_b32 v171, v21 offset:21824                         // 00000000CE14: D86C5540 AB000015
	ds_read_b32 v174, v21 offset:23936                         // 00000000CE1C: D86C5D80 AE000015
	ds_read_b32 v175, v21 offset:24000                         // 00000000CE24: D86C5DC0 AF000015
	ds_read_b32 v178, v21 offset:26112                         // 00000000CE2C: D86C6600 B2000015
	ds_read_b32 v179, v21 offset:26176                         // 00000000CE34: D86C6640 B3000015
	ds_read_b32 v182, v21 offset:28288                         // 00000000CE3C: D86C6E80 B6000015
	ds_read_b32 v183, v21 offset:28352                         // 00000000CE44: D86C6EC0 B7000015
	s_waitcnt lgkmcnt(0)                                       // 00000000CE4C: BF8CC07F
	v_mov_b32_e32 v7, 0                                        // 00000000CE50: 7E0E0280
	s_mov_b64 exec, s[36:37]                                   // 00000000CE54: BEFE0124
	v_mov_b32_e32 v6, v56                                      // 00000000CE58: 7E0C0338
	s_mov_b64 s[60:61], 0                                      // 00000000CE5C: BEBC0180
	v_readlane_b32 s82, v3, 0                                  // 00000000CE60: D2890052 00010103
	s_and_b32 s82, s82, 0xffffff                               // 00000000CE68: 8652FF52 00FFFFFF
	s_cmp_lt_u32 s82, s66                                      // 00000000CE70: BF0A4252
	s_cselect_b32 s20, s36, s60                                // 00000000CE74: 85143C24
	v_readlane_b32 s82, v3, 1                                  // 00000000CE78: D2890052 00010303
	s_and_b32 s82, s82, 0xffffff                               // 00000000CE80: 8652FF52 00FFFFFF
	s_cmp_lt_u32 s82, s66                                      // 00000000CE88: BF0A4252
	s_cselect_b32 s21, s36, s60                                // 00000000CE8C: 85153C24
	s_mov_b64 exec, s[20:21]                                   // 00000000CE90: BEFE0114
	global_atomic_add_f32 v6, v130, s[8:9] offset:8            // 00000000CE94: DD348008 00088206
	global_atomic_add_f32 v6, v134, s[8:9] offset:264          // 00000000CE9C: DD348108 00088606
	s_mov_b64 exec, s[36:37]                                   // 00000000CEA4: BEFE0124
	v_mov_b32_e32 v6, v57                                      // 00000000CEA8: 7E0C0339
	s_mov_b64 s[60:61], 0                                      // 00000000CEAC: BEBC0180
	v_readlane_b32 s82, v3, 2                                  // 00000000CEB0: D2890052 00010503
	s_and_b32 s82, s82, 0xffffff                               // 00000000CEB8: 8652FF52 00FFFFFF
	s_cmp_lt_u32 s82, s66                                      // 00000000CEC0: BF0A4252
	s_cselect_b32 s20, s36, s60                                // 00000000CEC4: 85143C24
	v_readlane_b32 s82, v3, 3                                  // 00000000CEC8: D2890052 00010703
	s_and_b32 s82, s82, 0xffffff                               // 00000000CED0: 8652FF52 00FFFFFF
	s_cmp_lt_u32 s82, s66                                      // 00000000CED8: BF0A4252
	s_cselect_b32 s21, s36, s60                                // 00000000CEDC: 85153C24
	s_mov_b64 exec, s[20:21]                                   // 00000000CEE0: BEFE0114
	global_atomic_add_f32 v6, v131, s[8:9] offset:8            // 00000000CEE4: DD348008 00088306
	global_atomic_add_f32 v6, v135, s[8:9] offset:264          // 00000000CEEC: DD348108 00088706
	s_mov_b64 exec, s[36:37]                                   // 00000000CEF4: BEFE0124
	v_mov_b32_e32 v6, v58                                      // 00000000CEF8: 7E0C033A
	s_mov_b64 s[60:61], 0                                      // 00000000CEFC: BEBC0180
	v_readlane_b32 s82, v3, 4                                  // 00000000CF00: D2890052 00010903
	s_and_b32 s82, s82, 0xffffff                               // 00000000CF08: 8652FF52 00FFFFFF
	s_cmp_lt_u32 s82, s66                                      // 00000000CF10: BF0A4252
	s_cselect_b32 s20, s36, s60                                // 00000000CF14: 85143C24
	v_readlane_b32 s82, v3, 5                                  // 00000000CF18: D2890052 00010B03
	s_and_b32 s82, s82, 0xffffff                               // 00000000CF20: 8652FF52 00FFFFFF
	s_cmp_lt_u32 s82, s66                                      // 00000000CF28: BF0A4252
	s_cselect_b32 s21, s36, s60                                // 00000000CF2C: 85153C24
	s_mov_b64 exec, s[20:21]                                   // 00000000CF30: BEFE0114
	global_atomic_add_f32 v6, v138, s[8:9] offset:8            // 00000000CF34: DD348008 00088A06
	global_atomic_add_f32 v6, v142, s[8:9] offset:264          // 00000000CF3C: DD348108 00088E06
	s_mov_b64 exec, s[36:37]                                   // 00000000CF44: BEFE0124
	v_mov_b32_e32 v6, v59                                      // 00000000CF48: 7E0C033B
	s_mov_b64 s[60:61], 0                                      // 00000000CF4C: BEBC0180
	v_readlane_b32 s82, v3, 6                                  // 00000000CF50: D2890052 00010D03
	s_and_b32 s82, s82, 0xffffff                               // 00000000CF58: 8652FF52 00FFFFFF
	s_cmp_lt_u32 s82, s66                                      // 00000000CF60: BF0A4252
	s_cselect_b32 s20, s36, s60                                // 00000000CF64: 85143C24
	v_readlane_b32 s82, v3, 7                                  // 00000000CF68: D2890052 00010F03
	s_and_b32 s82, s82, 0xffffff                               // 00000000CF70: 8652FF52 00FFFFFF
	s_cmp_lt_u32 s82, s66                                      // 00000000CF78: BF0A4252
	s_cselect_b32 s21, s36, s60                                // 00000000CF7C: 85153C24
	s_mov_b64 exec, s[20:21]                                   // 00000000CF80: BEFE0114
	global_atomic_add_f32 v6, v139, s[8:9] offset:8            // 00000000CF84: DD348008 00088B06
	global_atomic_add_f32 v6, v143, s[8:9] offset:264          // 00000000CF8C: DD348108 00088F06
	s_mov_b64 exec, s[36:37]                                   // 00000000CF94: BEFE0124
	v_mov_b32_e32 v6, v60                                      // 00000000CF98: 7E0C033C
	s_mov_b64 s[60:61], 0                                      // 00000000CF9C: BEBC0180
	v_readlane_b32 s82, v3, 8                                  // 00000000CFA0: D2890052 00011103
	s_and_b32 s82, s82, 0xffffff                               // 00000000CFA8: 8652FF52 00FFFFFF
	s_cmp_lt_u32 s82, s66                                      // 00000000CFB0: BF0A4252
	s_cselect_b32 s20, s36, s60                                // 00000000CFB4: 85143C24
	v_readlane_b32 s82, v3, 9                                  // 00000000CFB8: D2890052 00011303
	s_and_b32 s82, s82, 0xffffff                               // 00000000CFC0: 8652FF52 00FFFFFF
	s_cmp_lt_u32 s82, s66                                      // 00000000CFC8: BF0A4252
	s_cselect_b32 s21, s36, s60                                // 00000000CFCC: 85153C24
	s_mov_b64 exec, s[20:21]                                   // 00000000CFD0: BEFE0114
	global_atomic_add_f32 v6, v146, s[8:9] offset:8            // 00000000CFD4: DD348008 00089206
	global_atomic_add_f32 v6, v150, s[8:9] offset:264          // 00000000CFDC: DD348108 00089606
	s_mov_b64 exec, s[36:37]                                   // 00000000CFE4: BEFE0124
	v_mov_b32_e32 v6, v61                                      // 00000000CFE8: 7E0C033D
	s_mov_b64 s[60:61], 0                                      // 00000000CFEC: BEBC0180
	v_readlane_b32 s82, v3, 10                                 // 00000000CFF0: D2890052 00011503
	s_and_b32 s82, s82, 0xffffff                               // 00000000CFF8: 8652FF52 00FFFFFF
	s_cmp_lt_u32 s82, s66                                      // 00000000D000: BF0A4252
	s_cselect_b32 s20, s36, s60                                // 00000000D004: 85143C24
	v_readlane_b32 s82, v3, 11                                 // 00000000D008: D2890052 00011703
	s_and_b32 s82, s82, 0xffffff                               // 00000000D010: 8652FF52 00FFFFFF
	s_cmp_lt_u32 s82, s66                                      // 00000000D018: BF0A4252
	s_cselect_b32 s21, s36, s60                                // 00000000D01C: 85153C24
	s_mov_b64 exec, s[20:21]                                   // 00000000D020: BEFE0114
	global_atomic_add_f32 v6, v147, s[8:9] offset:8            // 00000000D024: DD348008 00089306
	global_atomic_add_f32 v6, v151, s[8:9] offset:264          // 00000000D02C: DD348108 00089706
	s_mov_b64 exec, s[36:37]                                   // 00000000D034: BEFE0124
	v_mov_b32_e32 v6, v62                                      // 00000000D038: 7E0C033E
	s_mov_b64 s[60:61], 0                                      // 00000000D03C: BEBC0180
	v_readlane_b32 s82, v3, 12                                 // 00000000D040: D2890052 00011903
	s_and_b32 s82, s82, 0xffffff                               // 00000000D048: 8652FF52 00FFFFFF
	s_cmp_lt_u32 s82, s66                                      // 00000000D050: BF0A4252
	s_cselect_b32 s20, s36, s60                                // 00000000D054: 85143C24
	v_readlane_b32 s82, v3, 13                                 // 00000000D058: D2890052 00011B03
	s_and_b32 s82, s82, 0xffffff                               // 00000000D060: 8652FF52 00FFFFFF
	s_cmp_lt_u32 s82, s66                                      // 00000000D068: BF0A4252
	s_cselect_b32 s21, s36, s60                                // 00000000D06C: 85153C24
	s_mov_b64 exec, s[20:21]                                   // 00000000D070: BEFE0114
	global_atomic_add_f32 v6, v154, s[8:9] offset:8            // 00000000D074: DD348008 00089A06
	global_atomic_add_f32 v6, v158, s[8:9] offset:264          // 00000000D07C: DD348108 00089E06
	s_mov_b64 exec, s[36:37]                                   // 00000000D084: BEFE0124
	v_mov_b32_e32 v6, v63                                      // 00000000D088: 7E0C033F
	s_mov_b64 s[60:61], 0                                      // 00000000D08C: BEBC0180
	v_readlane_b32 s82, v3, 14                                 // 00000000D090: D2890052 00011D03
	s_and_b32 s82, s82, 0xffffff                               // 00000000D098: 8652FF52 00FFFFFF
	s_cmp_lt_u32 s82, s66                                      // 00000000D0A0: BF0A4252
	s_cselect_b32 s20, s36, s60                                // 00000000D0A4: 85143C24
	v_readlane_b32 s82, v3, 15                                 // 00000000D0A8: D2890052 00011F03
	s_and_b32 s82, s82, 0xffffff                               // 00000000D0B0: 8652FF52 00FFFFFF
	s_cmp_lt_u32 s82, s66                                      // 00000000D0B8: BF0A4252
	s_cselect_b32 s21, s36, s60                                // 00000000D0BC: 85153C24
	s_mov_b64 exec, s[20:21]                                   // 00000000D0C0: BEFE0114
	global_atomic_add_f32 v6, v155, s[8:9] offset:8            // 00000000D0C4: DD348008 00089B06
	global_atomic_add_f32 v6, v159, s[8:9] offset:264          // 00000000D0CC: DD348108 00089F06
	s_mov_b64 exec, s[36:37]                                   // 00000000D0D4: BEFE0124
	v_mov_b32_e32 v6, v64                                      // 00000000D0D8: 7E0C0340
	s_mov_b64 s[60:61], 0                                      // 00000000D0DC: BEBC0180
	v_readlane_b32 s82, v3, 16                                 // 00000000D0E0: D2890052 00012103
	s_and_b32 s82, s82, 0xffffff                               // 00000000D0E8: 8652FF52 00FFFFFF
	s_cmp_lt_u32 s82, s66                                      // 00000000D0F0: BF0A4252
	s_cselect_b32 s20, s36, s60                                // 00000000D0F4: 85143C24
	v_readlane_b32 s82, v3, 17                                 // 00000000D0F8: D2890052 00012303
	s_and_b32 s82, s82, 0xffffff                               // 00000000D100: 8652FF52 00FFFFFF
	s_cmp_lt_u32 s82, s66                                      // 00000000D108: BF0A4252
	s_cselect_b32 s21, s36, s60                                // 00000000D10C: 85153C24
	s_mov_b64 exec, s[20:21]                                   // 00000000D110: BEFE0114
	global_atomic_add_f32 v6, v162, s[8:9] offset:8            // 00000000D114: DD348008 0008A206
	global_atomic_add_f32 v6, v166, s[8:9] offset:264          // 00000000D11C: DD348108 0008A606
	s_mov_b64 exec, s[36:37]                                   // 00000000D124: BEFE0124
	v_mov_b32_e32 v6, v65                                      // 00000000D128: 7E0C0341
	s_mov_b64 s[60:61], 0                                      // 00000000D12C: BEBC0180
	v_readlane_b32 s82, v3, 18                                 // 00000000D130: D2890052 00012503
	s_and_b32 s82, s82, 0xffffff                               // 00000000D138: 8652FF52 00FFFFFF
	s_cmp_lt_u32 s82, s66                                      // 00000000D140: BF0A4252
	s_cselect_b32 s20, s36, s60                                // 00000000D144: 85143C24
	v_readlane_b32 s82, v3, 19                                 // 00000000D148: D2890052 00012703
	s_and_b32 s82, s82, 0xffffff                               // 00000000D150: 8652FF52 00FFFFFF
	s_cmp_lt_u32 s82, s66                                      // 00000000D158: BF0A4252
	s_cselect_b32 s21, s36, s60                                // 00000000D15C: 85153C24
	s_mov_b64 exec, s[20:21]                                   // 00000000D160: BEFE0114
	global_atomic_add_f32 v6, v163, s[8:9] offset:8            // 00000000D164: DD348008 0008A306
	global_atomic_add_f32 v6, v167, s[8:9] offset:264          // 00000000D16C: DD348108 0008A706
	s_mov_b64 exec, s[36:37]                                   // 00000000D174: BEFE0124
	v_mov_b32_e32 v6, v66                                      // 00000000D178: 7E0C0342
	s_mov_b64 s[60:61], 0                                      // 00000000D17C: BEBC0180
	v_readlane_b32 s82, v3, 20                                 // 00000000D180: D2890052 00012903
	s_and_b32 s82, s82, 0xffffff                               // 00000000D188: 8652FF52 00FFFFFF
	s_cmp_lt_u32 s82, s66                                      // 00000000D190: BF0A4252
	s_cselect_b32 s20, s36, s60                                // 00000000D194: 85143C24
	v_readlane_b32 s82, v3, 21                                 // 00000000D198: D2890052 00012B03
	s_and_b32 s82, s82, 0xffffff                               // 00000000D1A0: 8652FF52 00FFFFFF
	s_cmp_lt_u32 s82, s66                                      // 00000000D1A8: BF0A4252
	s_cselect_b32 s21, s36, s60                                // 00000000D1AC: 85153C24
	s_mov_b64 exec, s[20:21]                                   // 00000000D1B0: BEFE0114
	global_atomic_add_f32 v6, v170, s[8:9] offset:8            // 00000000D1B4: DD348008 0008AA06
	global_atomic_add_f32 v6, v174, s[8:9] offset:264          // 00000000D1BC: DD348108 0008AE06
	s_mov_b64 exec, s[36:37]                                   // 00000000D1C4: BEFE0124
	v_mov_b32_e32 v6, v67                                      // 00000000D1C8: 7E0C0343
	s_mov_b64 s[60:61], 0                                      // 00000000D1CC: BEBC0180
	v_readlane_b32 s82, v3, 22                                 // 00000000D1D0: D2890052 00012D03
	s_and_b32 s82, s82, 0xffffff                               // 00000000D1D8: 8652FF52 00FFFFFF
	s_cmp_lt_u32 s82, s66                                      // 00000000D1E0: BF0A4252
	s_cselect_b32 s20, s36, s60                                // 00000000D1E4: 85143C24
	v_readlane_b32 s82, v3, 23                                 // 00000000D1E8: D2890052 00012F03
	s_and_b32 s82, s82, 0xffffff                               // 00000000D1F0: 8652FF52 00FFFFFF
	s_cmp_lt_u32 s82, s66                                      // 00000000D1F8: BF0A4252
	s_cselect_b32 s21, s36, s60                                // 00000000D1FC: 85153C24
	s_mov_b64 exec, s[20:21]                                   // 00000000D200: BEFE0114
	global_atomic_add_f32 v6, v171, s[8:9] offset:8            // 00000000D204: DD348008 0008AB06
	global_atomic_add_f32 v6, v175, s[8:9] offset:264          // 00000000D20C: DD348108 0008AF06
	s_mov_b64 exec, s[36:37]                                   // 00000000D214: BEFE0124
	v_mov_b32_e32 v6, v68                                      // 00000000D218: 7E0C0344
	s_mov_b64 s[60:61], 0                                      // 00000000D21C: BEBC0180
	v_readlane_b32 s82, v3, 24                                 // 00000000D220: D2890052 00013103
	s_and_b32 s82, s82, 0xffffff                               // 00000000D228: 8652FF52 00FFFFFF
	s_cmp_lt_u32 s82, s66                                      // 00000000D230: BF0A4252
	s_cselect_b32 s20, s36, s60                                // 00000000D234: 85143C24
	v_readlane_b32 s82, v3, 25                                 // 00000000D238: D2890052 00013303
	s_and_b32 s82, s82, 0xffffff                               // 00000000D240: 8652FF52 00FFFFFF
	s_cmp_lt_u32 s82, s66                                      // 00000000D248: BF0A4252
	s_cselect_b32 s21, s36, s60                                // 00000000D24C: 85153C24
	s_mov_b64 exec, s[20:21]                                   // 00000000D250: BEFE0114
	global_atomic_add_f32 v6, v178, s[8:9] offset:8            // 00000000D254: DD348008 0008B206
	global_atomic_add_f32 v6, v182, s[8:9] offset:264          // 00000000D25C: DD348108 0008B606
	s_mov_b64 exec, s[36:37]                                   // 00000000D264: BEFE0124
	v_mov_b32_e32 v6, v69                                      // 00000000D268: 7E0C0345
	s_mov_b64 s[60:61], 0                                      // 00000000D26C: BEBC0180
	v_readlane_b32 s82, v3, 26                                 // 00000000D270: D2890052 00013503
	s_and_b32 s82, s82, 0xffffff                               // 00000000D278: 8652FF52 00FFFFFF
	s_cmp_lt_u32 s82, s66                                      // 00000000D280: BF0A4252
	s_cselect_b32 s20, s36, s60                                // 00000000D284: 85143C24
	v_readlane_b32 s82, v3, 27                                 // 00000000D288: D2890052 00013703
	s_and_b32 s82, s82, 0xffffff                               // 00000000D290: 8652FF52 00FFFFFF
	s_cmp_lt_u32 s82, s66                                      // 00000000D298: BF0A4252
	s_cselect_b32 s21, s36, s60                                // 00000000D29C: 85153C24
	s_mov_b64 exec, s[20:21]                                   // 00000000D2A0: BEFE0114
	global_atomic_add_f32 v6, v179, s[8:9] offset:8            // 00000000D2A4: DD348008 0008B306
	global_atomic_add_f32 v6, v183, s[8:9] offset:264          // 00000000D2AC: DD348108 0008B706
	s_mov_b64 exec, s[36:37]                                   // 00000000D2B4: BEFE0124
	s_branch label_2A32                                        // 00000000D2B8: BF820000

000000000000d2bc <label_2A32>:
	s_waitcnt vmcnt(0) expcnt(0) lgkmcnt(0)                    // 00000000D2BC: BF8C0000
	s_endpgm                                                   // 00000000D2C0: BF810000
